;; amdgpu-corpus repo=ROCm/aiter kind=harvested arch=n/a opt=n/a

/root/src/amdgpu-assembly/repos/ROCm__aiter/hsa/gfx942/fmha_v3_bwd/bwd_hd128_bf16_swa_a32_rtne_psskddv.co:	file format elf64-amdgpu

Disassembly of section .text:

0000000000003e00 <_ZN5aiter40fmha_bwd_hd128_bf16_swa_a32_rtne_psskddvE>:
	s_and_b32 s1, s1, 0xffff                                   // 000000003E00: 8601FF01 0000FFFF
	s_load_dwordx2 s[32:33], s[0:1], 0x0                       // 000000003E08: C0060800 00000000
	s_load_dwordx2 s[36:37], s[0:1], 0x10                      // 000000003E10: C0060900 00000010
	s_load_dwordx2 s[40:41], s[0:1], 0x20                      // 000000003E18: C0060A00 00000020
	s_load_dwordx2 s[8:9], s[0:1], 0x30                        // 000000003E20: C0060200 00000030
	s_load_dwordx2 s[12:13], s[0:1], 0x40                      // 000000003E28: C0060300 00000040
	s_load_dwordx2 s[16:17], s[0:1], 0x50                      // 000000003E30: C0060400 00000050
	s_load_dwordx2 s[20:21], s[0:1], 0x60                      // 000000003E38: C0060500 00000060
	s_load_dwordx2 s[24:25], s[0:1], 0x70                      // 000000003E40: C0060600 00000070
	s_load_dwordx2 s[28:29], s[0:1], 0x80                      // 000000003E48: C0060700 00000080
	s_load_dword s47, s[0:1], 0x90                             // 000000003E50: C0020BC0 00000090
	s_load_dword s48, s[0:1], 0xa0                             // 000000003E58: C0020C00 000000A0
	s_load_dword s49, s[0:1], 0xb0                             // 000000003E60: C0020C40 000000B0
	s_load_dword s74, s[0:1], 0xd0                             // 000000003E68: C0021280 000000D0
	s_load_dword s75, s[0:1], 0xe0                             // 000000003E70: C00212C0 000000E0
	s_load_dword s5, s[0:1], 0xf0                              // 000000003E78: C0020140 000000F0
	s_load_dword s44, s[0:1], 0x100                            // 000000003E80: C0020B00 00000100
	s_load_dword s76, s[0:1], 0x110                            // 000000003E88: C0021300 00000110
	s_load_dword s77, s[0:1], 0x120                            // 000000003E90: C0021340 00000120
	s_load_dword s6, s[0:1], 0x130                             // 000000003E98: C0020180 00000130
	s_load_dword s52, s[0:1], 0x140                            // 000000003EA0: C0020D00 00000140
	s_load_dword s50, s[0:1], 0x150                            // 000000003EA8: C0020C80 00000150
	s_load_dword s96, s[0:1], 0x160                            // 000000003EB0: C0021800 00000160
	s_load_dword s98, s[0:1], 0x180                            // 000000003EB8: C0021880 00000180
	s_load_dword s86, s[0:1], 0x190                            // 000000003EC0: C0021580 00000190
	s_load_dword s87, s[0:1], 0x1a0                            // 000000003EC8: C00215C0 000001A0
	s_load_dword s7, s[0:1], 0x1b0                             // 000000003ED0: C00201C0 000001B0
	s_load_dword s88, s[0:1], 0x1c0                            // 000000003ED8: C0021600 000001C0
	s_load_dword s89, s[0:1], 0x1d0                            // 000000003EE0: C0021640 000001D0
	s_load_dword s51, s[0:1], 0x1e0                            // 000000003EE8: C0020CC0 000001E0
	s_load_dword s90, s[0:1], 0x1f0                            // 000000003EF0: C0021680 000001F0
	s_load_dword s91, s[0:1], 0x200                            // 000000003EF8: C00216C0 00000200
	s_load_dword s92, s[0:1], 0x210                            // 000000003F00: C0021700 00000210
	s_load_dword s93, s[0:1], 0x220                            // 000000003F08: C0021740 00000220
	s_load_dword s53, s[0:1], 0x230                            // 000000003F10: C0020D40 00000230
	s_load_dword s99, s[0:1], 0x2a0                            // 000000003F18: C00218C0 000002A0
	s_load_dword s100, s[0:1], 0x2b0                           // 000000003F20: C0021900 000002B0
	v_lshrrev_b32_e32 v1, 10, v0                               // 000000003F28: 2002008A
	v_lshrrev_b32_e32 v2, 10, v1                               // 000000003F2C: 2004028A
	v_and_b32_e32 v2, 0x3ff, v2                                // 000000003F30: 260404FF 000003FF
	v_and_b32_e32 v1, 0x3ff, v1                                // 000000003F38: 260202FF 000003FF
	v_and_b32_e32 v0, 0x3ff, v0                                // 000000003F40: 260000FF 000003FF
	v_lshrrev_b32_e32 v3, 6, v0                                // 000000003F48: 20060086
	v_and_b32_e32 v0, 63, v0                                   // 000000003F4C: 260000BF
	s_mov_b32 s2, s2                                           // 000000003F50: BE820002
	s_mov_b32 s3, s3                                           // 000000003F54: BE830003
	s_mov_b32 s4, s4                                           // 000000003F58: BE840004
	v_readfirstlane_b32 s46, v3                                // 000000003F5C: 7E5C0503
	s_waitcnt lgkmcnt(0)                                       // 000000003F60: BF8CC07F
	s_mov_b32 s11, 0x20000                                     // 000000003F64: BE8B00FF 00020000
	s_mov_b32 s15, 0x20000                                     // 000000003F6C: BE8F00FF 00020000
	s_mov_b32 s19, 0x20000                                     // 000000003F74: BE9300FF 00020000
	s_mov_b32 s23, 0x20000                                     // 000000003F7C: BE9700FF 00020000
	s_mov_b32 s27, 0x20000                                     // 000000003F84: BE9B00FF 00020000
	s_mov_b32 s31, 0x20000                                     // 000000003F8C: BE9F00FF 00020000
	s_mov_b32 s35, 0x20000                                     // 000000003F94: BEA300FF 00020000
	s_mov_b32 s39, 0x20000                                     // 000000003F9C: BEA700FF 00020000
	s_mov_b32 s43, 0x20000                                     // 000000003FA4: BEAB00FF 00020000
	s_and_b32 s9, s9, 0xffff                                   // 000000003FAC: 8609FF09 0000FFFF
	s_and_b32 s13, s13, 0xffff                                 // 000000003FB4: 860DFF0D 0000FFFF
	s_and_b32 s17, s17, 0xffff                                 // 000000003FBC: 8611FF11 0000FFFF
	s_and_b32 s21, s21, 0xffff                                 // 000000003FC4: 8615FF15 0000FFFF
	s_and_b32 s25, s25, 0xffff                                 // 000000003FCC: 8619FF19 0000FFFF
	s_and_b32 s29, s29, 0xffff                                 // 000000003FD4: 861DFF1D 0000FFFF
	s_and_b32 s33, s33, 0xffff                                 // 000000003FDC: 8621FF21 0000FFFF
	s_and_b32 s37, s37, 0xffff                                 // 000000003FE4: 8625FF25 0000FFFF
	s_and_b32 s41, s41, 0xffff                                 // 000000003FEC: 8629FF29 0000FFFF
	s_or_b32 s9, s9, 0x40000                                   // 000000003FF4: 8709FF09 00040000
	s_or_b32 s13, s13, 0x40000                                 // 000000003FFC: 870DFF0D 00040000
	s_or_b32 s17, s17, 0x40000                                 // 000000004004: 8711FF11 00040000
	s_or_b32 s21, s21, 0x40000                                 // 00000000400C: 8715FF15 00040000
	s_or_b32 s25, s25, 0x40000                                 // 000000004014: 8719FF19 00040000
	s_or_b32 s29, s29, 0x40000                                 // 00000000401C: 871DFF1D 00040000
	s_or_b32 s33, s33, 0x40000                                 // 000000004024: 8721FF21 00040000
	s_or_b32 s37, s37, 0x40000                                 // 00000000402C: 8725FF25 00040000
	s_or_b32 s41, s41, 0x40000                                 // 000000004034: 8729FF29 00040000
	v_accvgpr_write_b32 a255, 0                                // 00000000403C: D3D940FF 18000080
	v_mov_b32_e32 v255, 0                                      // 000000004044: 7FFE0280
	s_mov_b32 s78, s8                                          // 000000004048: BECE0008
	s_mov_b32 s80, s12                                         // 00000000404C: BED0000C
	s_mov_b32 s82, s16                                         // 000000004050: BED20010
	s_mov_b32 s84, s20                                         // 000000004054: BED40014
	s_mov_b32 s79, s9                                          // 000000004058: BECF0009
	s_mov_b32 s81, s13                                         // 00000000405C: BED1000D
	s_mov_b32 s83, s17                                         // 000000004060: BED30011
	s_mov_b32 s85, s21                                         // 000000004064: BED50015
	s_mov_b32 s71, s3                                          // 000000004068: BEC70003
	v_cvt_f32_u32_e32 v28, s44                                 // 00000000406C: 7E380C2C
	s_sub_i32 s60, 0, s44                                      // 000000004070: 81BC2C80
	v_rcp_iflag_f32_e32 v28, v28                               // 000000004074: 7E38471C
	s_nop 0                                                    // 000000004078: BF800000
	v_mul_f32_e32 v28, 0x4f7ffffe, v28                         // 00000000407C: 0A3838FF 4F7FFFFE
	v_cvt_u32_f32_e32 v28, v28                                 // 000000004084: 7E380F1C
	v_mul_lo_u32 v29, s60, v28                                 // 000000004088: D285001D 0002383C
	v_mul_hi_u32 v29, v28, v29                                 // 000000004090: D286001D 00023B1C
	v_add_u32_e32 v28, v28, v29                                // 000000004098: 68383B1C
	v_mul_hi_u32 v28, s71, v28                                 // 00000000409C: D286001C 00023847
	v_mul_lo_u32 v29, v28, s44                                 // 0000000040A4: D285001D 0000591C
	v_sub_u32_e32 v31, s71, v29                                // 0000000040AC: 6A3E3A47
	v_add_u32_e32 v30, 1, v28                                  // 0000000040B0: 683C3881
	v_cmp_le_u32_e32 vcc, s44, v31                             // 0000000040B4: 7D963E2C
	v_subrev_u32_e32 v29, s44, v31                             // 0000000040B8: 6C3A3E2C
	s_nop 0                                                    // 0000000040BC: BF800000
	v_cndmask_b32_e32 v28, v28, v30, vcc                       // 0000000040C0: 00383D1C
	v_cndmask_b32_e32 v31, v31, v29, vcc                       // 0000000040C4: 003E3B1F
	v_add_u32_e32 v29, 1, v28                                  // 0000000040C8: 683A3881
	v_cmp_le_u32_e32 vcc, s44, v31                             // 0000000040CC: 7D963E2C
	s_nop 1                                                    // 0000000040D0: BF800001
	v_cndmask_b32_e32 v31, v28, v29, vcc                       // 0000000040D4: 003E3B1C
	s_nop 3                                                    // 0000000040D8: BF800003
	v_readfirstlane_b32 s45, v31                               // 0000000040DC: 7E5A051F
	s_nop 3                                                    // 0000000040E0: BF800003
	v_mov_b32_e32 v28, s47                                     // 0000000040E4: 7E38022F
	v_mul_f32_e32 v28, s48, v28                                // 0000000040E8: 0A383830
	s_mov_b32 s66, 0                                           // 0000000040EC: BEC20080
	s_mov_b32 s58, s49                                         // 0000000040F0: BEBA0031
	s_mov_b32 s59, 0                                           // 0000000040F4: BEBB0080
	v_mov_b32_e32 v151, 0xff800000                             // 0000000040F8: 7F2E02FF FF800000
	s_mov_b32 s63, 0x5040100                                   // 000000004100: BEBF00FF 05040100
	s_mov_b32 s64, 0x7060302                                   // 000000004108: BEC000FF 07060302
	v_readfirstlane_b32 s57, v28                               // 000000004110: 7E72051C
	v_mov_b32_e32 v30, 0x3020706                               // 000000004114: 7E3C02FF 03020706
	v_mov_b32_e32 v28, s63                                     // 00000000411C: 7E38023F
	v_and_b32_e32 v29, 1, v0                                   // 000000004120: 263A0081
	v_cmp_eq_u32_e32 vcc, 1, v29                               // 000000004124: 7D943A81
	s_mul_i32 s60, s96, 64                                     // 000000004128: 923CC060
	s_mov_b32 s67, s60                                         // 00000000412C: BEC3003C
	v_cndmask_b32_e32 v15, v28, v30, vcc                       // 000000004130: 001E3D1C
	s_mul_i32 s68, 4, s5                                       // 000000004134: 92440584
	s_mul_i32 s97, 4, s51                                      // 000000004138: 92613384
	s_mov_b32 s69, 16                                          // 00000000413C: BEC50090
	s_mul_i32 s60, s6, 0xc0                                    // 000000004140: 923CFF06 000000C0
	s_mul_i32 s60, s2, s60                                     // 000000004148: 923C3C02
	s_mul_i32 s61, s45, s76                                    // 00000000414C: 923D4C2D
	s_mul_i32 s62, s4, s77                                     // 000000004150: 923E4D04
	s_add_u32 s54, s60, s61                                    // 000000004154: 80363D3C
	s_mul_i32 s60, s2, 0xc0                                    // 000000004158: 923CFF02 000000C0
	s_sub_i32 s60, s50, s60                                    // 000000004160: 81BC3C32
	s_mul_i32 s60, s6, s60                                     // 000000004164: 923C3C06
	s_lshr_b32 s60, s60, 2                                     // 000000004168: 8F3C823C
	s_mov_b32 s14, s60                                         // 00000000416C: BE8E003C
	s_add_u32 s12, s54, s80                                    // 000000004170: 800C5036
	s_addc_u32 s13, 0, s81                                     // 000000004174: 820D5180
	s_mul_hi_u32 s61, s4, s77                                  // 000000004178: 963D4D04
	s_and_b32 s61, s61, 0xffff                                 // 00000000417C: 863DFF3D 0000FFFF
	s_add_u32 s12, s12, s62                                    // 000000004184: 800C3E0C
	s_addc_u32 s13, s13, s61                                   // 000000004188: 820D3D0D
	s_mul_i32 s60, s7, 0xc0                                    // 00000000418C: 923CFF07 000000C0
	s_mul_i32 s60, s2, s60                                     // 000000004194: 923C3C02
	s_mul_i32 s61, s45, s86                                    // 000000004198: 923D562D
	s_mul_i32 s62, s4, s87                                     // 00000000419C: 923E5704
	s_add_u32 s54, s60, s61                                    // 0000000041A0: 80363D3C
	s_mul_i32 s60, s2, 0xc0                                    // 0000000041A4: 923CFF02 000000C0
	s_sub_i32 s60, s50, s60                                    // 0000000041AC: 81BC3C32
	s_mul_i32 s60, s7, s60                                     // 0000000041B0: 923C3C07
	s_lshr_b32 s60, s60, 2                                     // 0000000041B4: 8F3C823C
	s_mov_b32 s18, s60                                         // 0000000041B8: BE92003C
	s_add_u32 s16, s54, s82                                    // 0000000041BC: 80105236
	s_addc_u32 s17, 0, s83                                     // 0000000041C0: 82115380
	s_mul_hi_u32 s61, s4, s87                                  // 0000000041C4: 963D5704
	s_and_b32 s61, s61, 0xffff                                 // 0000000041C8: 863DFF3D 0000FFFF
	s_add_u32 s16, s16, s62                                    // 0000000041D0: 80103E10
	s_addc_u32 s17, s17, s61                                   // 0000000041D4: 82113D11
	s_mul_i32 s80, s2, 0xc0                                    // 0000000041D8: 9250FF02 000000C0
	s_sub_i32 s61, s80, s99                                    // 0000000041E0: 81BD6350
	s_cmp_ge_i32 s61, 0                                        // 0000000041E4: BF03803D
	s_cselect_b32 s61, s61, 0                                  // 0000000041E8: 853D803D
	s_cmp_lt_i32 s61, s49                                      // 0000000041EC: BF04313D
	s_cselect_b32 s61, s61, s49                                // 0000000041F0: 853D313D
	s_and_b32 s59, s61, -16                                    // 0000000041F4: 863BD03D
	s_add_i32 s60, s80, 0xc0                                   // 0000000041F8: 813CFF50 000000C0
	s_add_i32 s61, s60, s100                                   // 000000004200: 813D643C
	s_cmp_ge_i32 s61, 0                                        // 000000004204: BF03803D
	s_cselect_b32 s61, s61, 0                                  // 000000004208: 853D803D
	s_cmp_lt_i32 s61, s49                                      // 00000000420C: BF04313D
	s_cselect_b32 s61, s61, s49                                // 000000004210: 853D313D
	s_mov_b32 s58, s61                                         // 000000004214: BEBA003D
	s_add_u32 s101, 16, s59                                    // 000000004218: 80653B90
	s_mul_i32 s61, s3, s74                                     // 00000000421C: 923D4A03
	s_mul_i32 s62, s4, s75                                     // 000000004220: 923E4B04
	s_mov_b32 s55, s61                                         // 000000004224: BEB7003D
	s_mul_i32 s60, s5, s59                                     // 000000004228: 923C3B05
	s_add_u32 s55, s60, s55                                    // 00000000422C: 8037373C
	s_sub_i32 s60, s58, s59                                    // 000000004230: 81BC3B3A
	s_mul_i32 s61, s5, s60                                     // 000000004234: 923D3C05
	s_lshr_b32 s61, s61, 2                                     // 000000004238: 8F3D823D
	s_mov_b32 s10, s61                                         // 00000000423C: BE8A003D
	s_add_u32 s8, s55, s78                                     // 000000004240: 80084E37
	s_addc_u32 s9, 0, s79                                      // 000000004244: 82094F80
	s_mul_hi_u32 s61, s4, s75                                  // 000000004248: 963D4B04
	s_and_b32 s61, s61, 0xffff                                 // 00000000424C: 863DFF3D 0000FFFF
	s_add_u32 s8, s8, s62                                      // 000000004254: 80083E08
	s_addc_u32 s9, s9, s61                                     // 000000004258: 82093D09
	s_mul_i32 s61, s3, s88                                     // 00000000425C: 923D5803
	s_mul_i32 s62, s4, s89                                     // 000000004260: 923E5904
	s_mov_b32 s56, s61                                         // 000000004264: BEB8003D
	s_mul_i32 s61, s51, s59                                    // 000000004268: 923D3B33
	s_add_u32 s56, s61, s56                                    // 00000000426C: 8038383D
	s_mul_i32 s61, s51, s60                                    // 000000004270: 923D3C33
	s_lshr_b32 s61, s61, 2                                     // 000000004274: 8F3D823D
	s_mov_b32 s22, s61                                         // 000000004278: BE96003D
	s_add_u32 s20, s56, s84                                    // 00000000427C: 80145438
	s_addc_u32 s21, 0, s85                                     // 000000004280: 82155580
	s_mul_hi_u32 s61, s4, s89                                  // 000000004284: 963D5904
	s_and_b32 s61, s61, 0xffff                                 // 000000004288: 863DFF3D 0000FFFF
	s_add_u32 s20, s20, s62                                    // 000000004290: 80143E14
	s_addc_u32 s21, s21, s61                                   // 000000004294: 82153D15
	s_mul_i32 s62, s4, s98                                     // 000000004298: 923E6204
	s_mul_i32 s62, s62, s49                                    // 00000000429C: 923E313E
	s_lshl_b32 s62, s62, 2                                     // 0000000042A0: 8E3E823E
	s_mul_i32 s61, s3, s49                                     // 0000000042A4: 923D3103
	s_mul_i32 s61, 4, s61                                      // 0000000042A8: 923D3D84
	s_add_u32 s65, s61, s62                                    // 0000000042AC: 80413E3D
	s_mul_i32 s60, 4, s58                                      // 0000000042B0: 923C3A84
	s_add_u32 s60, s60, s61                                    // 0000000042B4: 803C3D3C
	s_add_u32 s60, s60, s62                                    // 0000000042B8: 803C3E3C
	s_lshr_b32 s60, s60, 2                                     // 0000000042BC: 8F3C823C
	s_add_u32 s24, s65, s24                                    // 0000000042C0: 80181841
	s_addc_u32 s25, 0, s25                                     // 0000000042C4: 82191980
	s_add_u32 s28, s65, s28                                    // 0000000042C8: 801C1C41
	s_addc_u32 s29, 0, s29                                     // 0000000042CC: 821D1D80
	s_mov_b32 s26, s60                                         // 0000000042D0: BE9A003C
	s_mov_b32 s30, s60                                         // 0000000042D4: BE9E003C
	s_cmp_lt_u32 s46, 2                                        // 0000000042D8: BF0A822E
	s_cselect_b32 s24, s24, s28                                // 0000000042DC: 85181C18
	s_cselect_b32 s25, s25, s29                                // 0000000042E0: 85191D19
	s_cselect_b32 s26, s26, s30                                // 0000000042E4: 851A1E1A
	s_cselect_b32 s27, s27, s31                                // 0000000042E8: 851B1F1B
	s_mov_b32 s71, s6                                          // 0000000042EC: BEC70006
	v_lshrrev_b32_e32 v28, 4, v0                               // 0000000042F0: 20380084
	v_and_b32_e32 v29, 1, v28                                  // 0000000042F4: 263A3881
	v_lshlrev_b32_e32 v29, 1, v29                              // 0000000042F8: 243A3A81
	v_mul_i32_i24_e32 v29, s71, v29                            // 0000000042FC: 0C3A3A47
	v_and_b32_e32 v30, 2, v28                                  // 000000004300: 263C3882
	v_lshlrev_b32_e32 v30, 5, v30                              // 000000004304: 243C3C85
	v_add_u32_e32 v29, v30, v29                                // 000000004308: 683A3B1E
	v_and_b32_e32 v28, 15, v0                                  // 00000000430C: 2638008F
	v_lshlrev_b32_e32 v28, 2, v28                              // 000000004310: 24383882
	v_add_u32_e32 v1, v28, v29                                 // 000000004314: 68023B1C
	s_and_b32 s60, 1, s46                                      // 000000004318: 863C2E81
	s_mul_i32 s60, s60, s71                                    // 00000000431C: 923C473C
	s_mul_i32 s60, s60, 8                                      // 000000004320: 923C883C
	s_lshr_b32 s61, s46, 1                                     // 000000004324: 8F3D812E
	s_mul_i32 s61, s61, 0x80                                   // 000000004328: 923DFF3D 00000080
	s_add_u32 s60, s60, s61                                    // 000000004330: 803C3D3C
	v_add_u32_e32 v1, s60, v1                                  // 000000004334: 6802023C
	v_add_u32_e32 v2, s71, v1                                  // 000000004338: 68040247
	s_mul_i32 s60, 4, s71                                      // 00000000433C: 923C4784
	v_add_u32_e32 v3, s60, v1                                  // 000000004340: 6806023C
	v_add_u32_e32 v4, s60, v2                                  // 000000004344: 6808043C
	s_mov_b32 s71, s7                                          // 000000004348: BEC70007
	v_lshrrev_b32_e32 v28, 4, v0                               // 00000000434C: 20380084
	v_and_b32_e32 v29, 1, v28                                  // 000000004350: 263A3881
	v_lshlrev_b32_e32 v29, 1, v29                              // 000000004354: 243A3A81
	v_mul_i32_i24_e32 v29, s71, v29                            // 000000004358: 0C3A3A47
	v_and_b32_e32 v30, 2, v28                                  // 00000000435C: 263C3882
	v_lshlrev_b32_e32 v30, 5, v30                              // 000000004360: 243C3C85
	v_add_u32_e32 v29, v30, v29                                // 000000004364: 683A3B1E
	v_and_b32_e32 v28, 15, v0                                  // 000000004368: 2638008F
	v_lshlrev_b32_e32 v28, 2, v28                              // 00000000436C: 24383882
	v_add_u32_e32 v252, v28, v29                               // 000000004370: 69F83B1C
	s_and_b32 s60, 1, s46                                      // 000000004374: 863C2E81
	s_mul_i32 s60, s60, s71                                    // 000000004378: 923C473C
	s_mul_i32 s60, s60, 8                                      // 00000000437C: 923C883C
	s_lshr_b32 s61, s46, 1                                     // 000000004380: 8F3D812E
	s_mul_i32 s61, s61, 0x80                                   // 000000004384: 923DFF3D 00000080
	s_add_u32 s60, s60, s61                                    // 00000000438C: 803C3D3C
	v_add_u32_e32 v252, s60, v252                              // 000000004390: 69F9F83C
	v_add_u32_e32 v253, s71, v252                              // 000000004394: 69FBF847
	s_mul_i32 s60, 4, s71                                      // 000000004398: 923C4784
	v_add_u32_e32 v254, s60, v252                              // 00000000439C: 69FDF83C
	v_add_u32_e32 v255, s60, v253                              // 0000000043A0: 69FFFA3C
	v_lshrrev_b32_e32 v1, 2, v1                                // 0000000043A4: 20020282
	v_lshrrev_b32_e32 v2, 2, v2                                // 0000000043A8: 20040482
	v_lshrrev_b32_e32 v3, 2, v3                                // 0000000043AC: 20060682
	v_lshrrev_b32_e32 v4, 2, v4                                // 0000000043B0: 20080882
	v_lshrrev_b32_e32 v252, 2, v252                            // 0000000043B4: 21F9F882
	v_lshrrev_b32_e32 v253, 2, v253                            // 0000000043B8: 21FBFA82
	v_lshrrev_b32_e32 v254, 2, v254                            // 0000000043BC: 21FDFC82
	v_lshrrev_b32_e32 v255, 2, v255                            // 0000000043C0: 21FFFE82
	s_mul_i32 s60, 4, s59                                      // 0000000043C4: 923C3B84
	v_and_b32_e32 v9, 15, v0                                   // 0000000043C8: 2612008F
	v_lshlrev_b32_e32 v9, 2, v9                                // 0000000043CC: 24121282
	v_add_u32_e32 v9, s60, v9                                  // 0000000043D0: 6812123C
	v_lshrrev_b32_e32 v9, 2, v9                                // 0000000043D4: 20121282
	s_mov_b32 s70, s52                                         // 0000000043D8: BEC60034
	v_lshrrev_b32_e32 v28, 4, v0                               // 0000000043DC: 20380084
	v_mul_i32_i24_e32 v5, s70, v28                             // 0000000043E0: 0C0A3846
	v_lshrrev_b32_e32 v5, 2, v5                                // 0000000043E4: 200A0A82
	v_and_b32_e32 v28, 15, v0                                  // 0000000043E8: 2638008F
	v_lshlrev_b32_e32 v29, 2, v28                              // 0000000043EC: 243A3882
	v_add_u32_e32 v5, v29, v5                                  // 0000000043F0: 680A0B1D
	s_mul_i32 s60, 16, s70                                     // 0000000043F4: 923C4690
	s_mul_i32 s60, s46, s60                                    // 0000000043F8: 923C3C2E
	v_lshlrev_b32_e32 v5, 2, v5                                // 0000000043FC: 240A0A82
	v_add_u32_e32 v5, s60, v5                                  // 000000004400: 680A0A3C
	s_mul_i32 s60, 0xc0, s52                                   // 000000004404: 923C34FF 000000C0
	s_mul_i32 s60, s2, s60                                     // 00000000440C: 923C3C02
	s_mul_i32 s61, s3, s90                                     // 000000004410: 923D5A03
	s_mul_i32 s62, s4, s91                                     // 000000004414: 923E5B04
	s_add_u32 s60, s60, s61                                    // 000000004418: 803C3D3C
	v_add_u32_e32 v5, s60, v5                                  // 00000000441C: 680A0A3C
	v_lshrrev_b32_e32 v5, 2, v5                                // 000000004420: 200A0A82
	s_mul_i32 s60, s50, s52                                    // 000000004424: 923C3432
	s_add_u32 s60, s60, s61                                    // 000000004428: 803C3D3C
	s_lshr_b32 s60, s60, 2                                     // 00000000442C: 8F3C823C
	s_mov_b32 s38, s60                                         // 000000004430: BEA6003C
	s_mul_hi_u32 s61, s4, s91                                  // 000000004434: 963D5B04
	s_and_b32 s61, s61, 0xffff                                 // 000000004438: 863DFF3D 0000FFFF
	s_add_u32 s36, s62, s36                                    // 000000004440: 8024243E
	s_addc_u32 s37, s61, s37                                   // 000000004444: 8225253D
	s_mov_b32 s70, s53                                         // 000000004448: BEC60035
	v_lshrrev_b32_e32 v28, 4, v0                               // 00000000444C: 20380084
	v_mul_i32_i24_e32 v6, s70, v28                             // 000000004450: 0C0C3846
	v_lshrrev_b32_e32 v6, 2, v6                                // 000000004454: 200C0C82
	v_and_b32_e32 v28, 15, v0                                  // 000000004458: 2638008F
	v_lshlrev_b32_e32 v29, 2, v28                              // 00000000445C: 243A3882
	v_add_u32_e32 v6, v29, v6                                  // 000000004460: 680C0D1D
	s_mul_i32 s60, 16, s70                                     // 000000004464: 923C4690
	s_mul_i32 s60, s46, s60                                    // 000000004468: 923C3C2E
	v_lshlrev_b32_e32 v6, 2, v6                                // 00000000446C: 240C0C82
	v_add_u32_e32 v6, s60, v6                                  // 000000004470: 680C0C3C
	s_mul_i32 s60, 0xc0, s53                                   // 000000004474: 923C35FF 000000C0
	s_mul_i32 s60, s2, s60                                     // 00000000447C: 923C3C02
	s_mul_i32 s61, s3, s92                                     // 000000004480: 923D5C03
	s_mul_i32 s62, s4, s93                                     // 000000004484: 923E5D04
	s_add_u32 s60, s60, s61                                    // 000000004488: 803C3D3C
	v_add_u32_e32 v6, s60, v6                                  // 00000000448C: 680C0C3C
	v_lshrrev_b32_e32 v6, 2, v6                                // 000000004490: 200C0C82
	s_mul_i32 s60, s50, s53                                    // 000000004494: 923C3532
	s_add_u32 s60, s60, s61                                    // 000000004498: 803C3D3C
	s_lshr_b32 s60, s60, 2                                     // 00000000449C: 8F3C823C
	s_mov_b32 s42, s60                                         // 0000000044A0: BEAA003C
	s_mul_hi_u32 s61, s4, s93                                  // 0000000044A4: 963D5D04
	s_and_b32 s61, s61, 0xffff                                 // 0000000044A8: 863DFF3D 0000FFFF
	s_add_u32 s40, s62, s40                                    // 0000000044B0: 8028283E
	s_addc_u32 s41, s61, s41                                   // 0000000044B4: 8229293D
	v_lshrrev_b32_e32 v28, 5, v0                               // 0000000044B8: 20380085
	v_mul_i32_i24_e64 v29, s96, 2                              // 0000000044BC: D106001D 00010460
	v_mul_i32_i24_e32 v7, v29, v28                             // 0000000044C4: 0C0E391D
	v_and_b32_e32 v28, 31, v0                                  // 0000000044C8: 2638009F
	v_add_u32_e32 v7, v28, v7                                  // 0000000044CC: 680E0F1C
	s_mul_i32 s60, 4, s96                                      // 0000000044D0: 923C6084
	s_mul_i32 s60, s46, s60                                    // 0000000044D4: 923C3C2E
	v_add_u32_e32 v7, s60, v7                                  // 0000000044D8: 680E0E3C
	v_lshlrev_b32_e32 v7, 2, v7                                // 0000000044DC: 240E0E82
	v_mul_i32_i24_e32 v29, 2, v29                              // 0000000044E0: 0C3A3A82
	v_add_u32_e32 v8, v29, v7                                  // 0000000044E4: 68100F1D
	s_mul_i32 s60, 4, s59                                      // 0000000044E8: 923C3B84
	s_add_u32 s60, s65, s60                                    // 0000000044EC: 803C3C41
	s_mul_i32 s72, s96, s60                                    // 0000000044F0: 92483C60
	s_mul_hi_u32 s62, s96, s60                                 // 0000000044F4: 963E3C60
	s_and_b32 s62, s62, 0xffff                                 // 0000000044F8: 863EFF3E 0000FFFF
	s_add_u32 s32, s72, s32                                    // 000000004500: 80202048
	s_addc_u32 s33, s62, s33                                   // 000000004504: 8221213E
	s_sub_i32 s60, s58, s59                                    // 000000004508: 81BC3B3A
	s_mul_i32 s60, s96, s60                                    // 00000000450C: 923C3C60
	s_lshl_b32 s60, s60, 2                                     // 000000004510: 8E3C823C
	s_mov_b32 s34, s60                                         // 000000004514: BEA2003C
	s_mul_i32 s60, 3, s2                                       // 000000004518: 923C0283
	s_add_u32 s61, s50, 63                                     // 00000000451C: 803DBF32
	s_lshr_b32 s61, s61, 6                                     // 000000004520: 8F3D863D
	s_sub_i32 s73, s61, s60                                    // 000000004524: 81C93C3D
	s_cmp_lt_i32 s73, 3                                        // 000000004528: BF048349
	s_cselect_b32 s73, s73, 3                                  // 00000000452C: 85498349
	v_mov_b32_e32 v249, 0xffff0000                             // 000000004530: 7FF202FF FFFF0000
	v_mov_b32_e32 v250, 0x7fff0000                             // 000000004538: 7FF402FF 7FFF0000
	v_mov_b32_e32 v251, 0x7fff                                 // 000000004540: 7FF602FF 00007FFF
	s_lshr_b32 s60, s46, 1                                     // 000000004548: 8F3C812E
	s_lshl_b32 s60, s60, 8                                     // 00000000454C: 8E3C883C
	s_add_u32 s76, 0xc600, s60                                 // 000000004550: 804C3CFF 0000C600
	s_add_u32 s77, 0x200, s76                                  // 000000004558: 804D4CFF 00000200
	s_mov_b32 m0, s76                                          // 000000004560: BEFC004C
	v_lshrrev_b32_e32 v28, 2, v0                               // 000000004564: 20380082
	v_and_b32_e32 v29, 3, v28                                  // 000000004568: 263A3883
	v_lshrrev_b32_e32 v30, 3, v28                              // 00000000456C: 203C3883
	v_lshlrev_b32_e32 v30, 2, v30                              // 000000004570: 243C3C82
	v_add_u32_e32 v28, v30, v29                                // 000000004574: 68383B1E
	s_lshr_b32 s60, s46, 1                                     // 000000004578: 8F3C812E
	s_sub_i32 s60, 1, s60                                      // 00000000457C: 81BC3C81
	v_mul_i32_i24_e64 v29, s60, 8                              // 000000004580: D106001D 0001103C
	v_mov_b32_e32 v30, s96                                     // 000000004588: 7E3C0260
	v_sub_u32_e64 v30, v30, 64                                 // 00000000458C: D135001E 0001811E
	v_lshrrev_b32_e32 v30, 3, v30                              // 000000004594: 203C3C83
	v_add_u32_e32 v29, v30, v29                                // 000000004598: 683A3B1E
	v_cmp_lt_u32_e64 s[88:89], v28, v29                        // 00000000459C: D0C90058 00023B1C
	s_mov_b32 s86, -1                                          // 0000000045A4: BED600C1
	s_mov_b32 s87, -1                                          // 0000000045A8: BED700C1
	v_and_b32_e32 v28, 15, v0                                  // 0000000045AC: 2638008F
	v_mov_b32_e32 v29, s96                                     // 0000000045B0: 7E3A0260
	v_lshrrev_b32_e32 v29, 3, v29                              // 0000000045B4: 203A3A83
	v_cmp_lt_u32_e64 s[90:91], v28, v29                        // 0000000045B8: D0C9005A 00023B1C
	s_sub_i32 s94, s50, s80                                    // 0000000045C0: 81DE5032
	v_and_b32_e32 v28, 31, v0                                  // 0000000045C4: 2638009F
	v_lshrrev_b32_e32 v28, 1, v28                              // 0000000045C8: 20383881
	v_and_b32_e32 v29, 1, v28                                  // 0000000045CC: 263A3881
	v_lshlrev_b32_e32 v29, 4, v29                              // 0000000045D0: 243A3A84
	v_and_b32_e32 v30, 2, v28                                  // 0000000045D4: 263C3882
	v_lshlrev_b32_e32 v30, 2, v30                              // 0000000045D8: 243C3C82
	v_add_u32_e32 v29, v30, v29                                // 0000000045DC: 683A3B1E
	v_and_b32_e32 v30, 12, v28                                 // 0000000045E0: 263C388C
	v_lshrrev_b32_e32 v30, 1, v30                              // 0000000045E4: 203C3C81
	v_add_u32_e32 v29, v30, v29                                // 0000000045E8: 683A3B1E
	v_lshrrev_b32_e32 v28, 5, v0                               // 0000000045EC: 20380085
	v_mul_i32_i24_e32 v30, 0x80, v28                           // 0000000045F0: 0C3C38FF 00000080
	v_add_u32_e32 v29, v30, v29                                // 0000000045F8: 683A3B1E
	v_and_b32_e32 v30, 1, v0                                   // 0000000045FC: 263C0081
	v_add_u32_e32 v11, v30, v29                                // 000000004600: 68163B1E
	s_and_b32 s60, 1, s46                                      // 000000004604: 863C2E81
	s_mul_i32 s60, s60, 64                                     // 000000004608: 923CC03C
	s_lshr_b32 s61, s46, 1                                     // 00000000460C: 8F3D812E
	s_mul_i32 s61, s61, 0x220                                  // 000000004610: 923DFF3D 00000220
	s_add_u32 s60, s60, s61                                    // 000000004618: 803C3D3C
	v_add_u32_e32 v11, s60, v11                                // 00000000461C: 6816163C
	v_lshlrev_b32_e32 v11, 2, v11                              // 000000004620: 24161682
	v_lshrrev_b32_e32 v28, 4, v0                               // 000000004624: 20380084
	v_and_b32_e32 v29, 1, v28                                  // 000000004628: 263A3881
	v_lshlrev_b32_e32 v29, 4, v29                              // 00000000462C: 243A3A84
	v_and_b32_e32 v30, 2, v28                                  // 000000004630: 263C3882
	v_mul_i32_i24_e32 v30, 4, v30                              // 000000004634: 0C3C3C84
	v_add_u32_e32 v29, v30, v29                                // 000000004638: 683A3B1E
	v_and_b32_e32 v28, 15, v0                                  // 00000000463C: 2638008F
	v_lshrrev_b32_e32 v30, 2, v28                              // 000000004640: 203C3882
	v_lshlrev_b32_e32 v30, 5, v30                              // 000000004644: 243C3C85
	v_add_u32_e32 v29, v30, v29                                // 000000004648: 683A3B1E
	v_and_b32_e32 v28, 3, v0                                   // 00000000464C: 26380083
	v_and_b32_e32 v30, 1, v28                                  // 000000004650: 263C3881
	v_mul_i32_i24_e32 v30, 0x108, v30                          // 000000004654: 0C3C3CFF 00000108
	v_add_u32_e32 v29, v30, v29                                // 00000000465C: 683A3B1E
	v_and_b32_e32 v30, 2, v28                                  // 000000004660: 263C3882
	v_lshlrev_b32_e32 v30, 1, v30                              // 000000004664: 243C3C81
	v_add_u32_e32 v10, v30, v29                                // 000000004668: 68143B1E
	v_lshlrev_b32_e32 v10, 2, v10                              // 00000000466C: 24141482
	s_mul_i32 s60, s46, 0x1100                                 // 000000004670: 923CFF2E 00001100
	v_add_u32_e32 v22, s60, v10                                // 000000004678: 682C143C
	v_lshrrev_b32_e32 v28, 5, v0                               // 00000000467C: 20380085
	v_mul_i32_i24_e32 v13, 0x80, v28                           // 000000004680: 0C1A38FF 00000080
	v_and_b32_e32 v28, 31, v0                                  // 000000004688: 2638009F
	v_and_b32_e32 v29, 7, v28                                  // 00000000468C: 263A3887
	v_and_b32_e32 v30, 1, v29                                  // 000000004690: 263C3A81
	v_lshlrev_b32_e32 v30, 2, v30                              // 000000004694: 243C3C82
	v_add_u32_e32 v13, v30, v13                                // 000000004698: 681A1B1E
	v_and_b32_e32 v30, 2, v29                                  // 00000000469C: 263C3A82
	v_lshlrev_b32_e32 v30, 3, v30                              // 0000000046A0: 243C3C83
	v_add_u32_e32 v13, v30, v13                                // 0000000046A4: 681A1B1E
	v_and_b32_e32 v30, 4, v29                                  // 0000000046A8: 263C3A84
	v_lshlrev_b32_e32 v30, 1, v30                              // 0000000046AC: 243C3C81
	v_add_u32_e32 v13, v30, v13                                // 0000000046B0: 681A1B1E
	v_lshrrev_b32_e32 v29, 3, v28                              // 0000000046B4: 203A3883
	v_and_b32_e32 v30, 1, v29                                  // 0000000046B8: 263C3A81
	v_lshlrev_b32_e32 v30, 1, v30                              // 0000000046BC: 243C3C81
	v_add_u32_e32 v13, v30, v13                                // 0000000046C0: 681A1B1E
	v_and_b32_e32 v30, 2, v29                                  // 0000000046C4: 263C3A82
	v_lshrrev_b32_e32 v30, 1, v30                              // 0000000046C8: 203C3C81
	v_add_u32_e32 v13, v30, v13                                // 0000000046CC: 681A1B1E
	s_and_b32 s60, 1, s46                                      // 0000000046D0: 863C2E81
	s_mul_i32 s60, s60, 64                                     // 0000000046D4: 923CC03C
	s_lshr_b32 s61, s46, 1                                     // 0000000046D8: 8F3D812E
	s_mul_i32 s61, s61, 0x220                                  // 0000000046DC: 923DFF3D 00000220
	s_add_u32 s60, s60, s61                                    // 0000000046E4: 803C3D3C
	v_add_u32_e32 v13, s60, v13                                // 0000000046E8: 681A1A3C
	v_lshlrev_b32_e32 v13, 2, v13                              // 0000000046EC: 241A1A82
	v_and_b32_e32 v28, 15, v0                                  // 0000000046F0: 2638008F
	v_and_b32_e32 v30, 1, v28                                  // 0000000046F4: 263C3881
	v_mul_i32_i24_e32 v12, 0x108, v30                          // 0000000046F8: 0C183CFF 00000108
	v_and_b32_e32 v30, 2, v28                                  // 000000004700: 263C3882
	v_lshlrev_b32_e32 v30, 1, v30                              // 000000004704: 243C3C81
	v_add_u32_e32 v12, v30, v12                                // 000000004708: 6818191E
	v_and_b32_e32 v30, 4, v28                                  // 00000000470C: 263C3884
	v_lshlrev_b32_e32 v30, 2, v30                              // 000000004710: 243C3C82
	v_add_u32_e32 v12, v30, v12                                // 000000004714: 6818191E
	v_and_b32_e32 v30, 8, v28                                  // 000000004718: 263C3888
	v_add_u32_e32 v12, v30, v12                                // 00000000471C: 6818191E
	v_lshrrev_b32_e32 v28, 4, v0                               // 000000004720: 20380084
	v_and_b32_e32 v30, 1, v28                                  // 000000004724: 263C3881
	v_lshlrev_b32_e32 v30, 5, v30                              // 000000004728: 243C3C85
	v_add_u32_e32 v12, v30, v12                                // 00000000472C: 6818191E
	v_and_b32_e32 v29, 2, v28                                  // 000000004730: 263A3882
	v_mul_i32_i24_e32 v30, 32, v29                             // 000000004734: 0C3C3AA0
	v_mul_i32_i24_e32 v29, 0x220, v29                          // 000000004738: 0C3A3AFF 00000220
	v_add_u32_e32 v23, v29, v12                                // 000000004740: 682E191D
	v_add_u32_e32 v12, v30, v12                                // 000000004744: 6818191E
	v_lshlrev_b32_e32 v12, 2, v12                              // 000000004748: 24181882
	v_lshlrev_b32_e32 v23, 2, v23                              // 00000000474C: 242E2E82
	s_and_b32 s60, 1, s46                                      // 000000004750: 863C2E81
	s_mul_i32 s60, s60, 0x200                                  // 000000004754: 923CFF3C 00000200
	s_lshr_b32 s61, s46, 1                                     // 00000000475C: 8F3D812E
	s_mul_i32 s61, s61, 0x880                                  // 000000004760: 923DFF3D 00000880
	s_add_u32 s60, s60, s61                                    // 000000004768: 803C3D3C
	v_add_u32_e32 v23, s60, v23                                // 00000000476C: 682E2E3C
	v_lshrrev_b32_e32 v28, 4, v0                               // 000000004770: 20380084
	v_mul_i32_i24_e32 v21, 4, v28                              // 000000004774: 0C2A3884
	v_and_b32_e32 v29, 3, v0                                   // 000000004778: 263A0083
	v_add_u32_e32 v21, v29, v21                                // 00000000477C: 682A2B1D
	v_lshlrev_b32_e32 v21, 2, v21                              // 000000004780: 242A2A82
	v_lshrrev_b32_e32 v28, 4, v0                               // 000000004784: 20380084
	v_and_b32_e32 v29, 1, v28                                  // 000000004788: 263A3881
	v_mul_i32_i24_e32 v19, 0x100, v29                          // 00000000478C: 0C263AFF 00000100
	v_and_b32_e32 v29, 2, v28                                  // 000000004794: 263A3882
	v_mul_i32_i24_e32 v29, 64, v29                             // 000000004798: 0C3A3AC0
	v_add_u32_e32 v19, v29, v19                                // 00000000479C: 6826271D
	v_and_b32_e32 v28, 15, v0                                  // 0000000047A0: 2638008F
	v_mul_i32_i24_e32 v29, 2, v28                              // 0000000047A4: 0C3A3882
	v_add_u32_e32 v19, v29, v19                                // 0000000047A8: 6826271D
	s_mul_i32 s60, s46, 32                                     // 0000000047AC: 923CA02E
	v_add_u32_e32 v19, s60, v19                                // 0000000047B0: 6826263C
	v_lshlrev_b32_e32 v19, 2, v19                              // 0000000047B4: 24262682
	v_lshlrev_b32_e32 v20, 1, v0                               // 0000000047B8: 24280081
	s_mul_i32 s60, s46, 0x200                                  // 0000000047BC: 923CFF2E 00000200
	v_add_u32_e32 v20, s60, v20                                // 0000000047C4: 6828283C
	v_lshlrev_b32_e32 v20, 2, v20                              // 0000000047C8: 24282882
	v_lshrrev_b32_e32 v28, 5, v0                               // 0000000047CC: 20380085
	v_mul_i32_i24_e32 v17, 64, v28                             // 0000000047D0: 0C2238C0
	v_and_b32_e32 v28, 31, v0                                  // 0000000047D4: 2638009F
	v_and_b32_e32 v28, 3, v28                                  // 0000000047D8: 26383883
	v_and_b32_e32 v29, 1, v28                                  // 0000000047DC: 263A3881
	v_mul_i32_i24_e32 v29, 4, v29                              // 0000000047E0: 0C3A3A84
	v_add_u32_e32 v17, v29, v17                                // 0000000047E4: 6822231D
	v_and_b32_e32 v29, 2, v28                                  // 0000000047E8: 263A3882
	v_mul_i32_i24_e32 v29, 0x44, v29                           // 0000000047EC: 0C3A3AFF 00000044
	v_add_u32_e32 v17, v29, v17                                // 0000000047F4: 6822231D
	v_and_b32_e32 v28, 31, v0                                  // 0000000047F8: 2638009F
	v_lshrrev_b32_e32 v28, 2, v28                              // 0000000047FC: 20383882
	v_lshrrev_b32_e32 v30, 2, v28                              // 000000004800: 203C3882
	v_mul_i32_i24_e32 v29, 16, v30                             // 000000004804: 0C3A3C90
	v_add_u32_e32 v17, v29, v17                                // 000000004808: 6822231D
	v_and_b32_e32 v29, 2, v28                                  // 00000000480C: 263A3882
	v_lshlrev_b32_e32 v29, 4, v29                              // 000000004810: 243A3A84
	v_add_u32_e32 v17, v29, v17                                // 000000004814: 6822231D
	v_and_b32_e32 v29, 1, v28                                  // 000000004818: 263A3881
	v_xor_b32_e32 v29, v30, v29                                // 00000000481C: 2A3A3B1E
	v_mul_i32_i24_e32 v29, 8, v29                              // 000000004820: 0C3A3A88
	v_add_u32_e32 v17, v29, v17                                // 000000004824: 6822231D
	v_lshlrev_b32_e32 v17, 2, v17                              // 000000004828: 24222282
	v_lshrrev_b32_e32 v28, 5, v0                               // 00000000482C: 20380085
	v_mul_i32_i24_e32 v18, 32, v28                             // 000000004830: 0C2438A0
	v_and_b32_e32 v28, 31, v0                                  // 000000004834: 2638009F
	v_and_b32_e32 v28, 3, v28                                  // 000000004838: 26383883
	v_and_b32_e32 v29, 1, v28                                  // 00000000483C: 263A3881
	v_mul_i32_i24_e32 v29, 4, v29                              // 000000004840: 0C3A3A84
	v_add_u32_e32 v18, v29, v18                                // 000000004844: 6824251D
	v_and_b32_e32 v29, 2, v28                                  // 000000004848: 263A3882
	v_lshrrev_b32_e32 v29, 1, v29                              // 00000000484C: 203A3A81
	v_add_u32_e32 v18, v29, v18                                // 000000004850: 6824251D
	v_and_b32_e32 v28, 31, v0                                  // 000000004854: 2638009F
	v_lshrrev_b32_e32 v28, 2, v28                              // 000000004858: 20383882
	v_and_b32_e32 v30, 1, v28                                  // 00000000485C: 263C3881
	v_mul_i32_i24_e32 v29, 16, v30                             // 000000004860: 0C3A3C90
	v_add_u32_e32 v18, v29, v18                                // 000000004864: 6824251D
	v_and_b32_e32 v29, 2, v28                                  // 000000004868: 263A3882
	v_add_u32_e32 v18, v29, v18                                // 00000000486C: 6824251D
	v_lshrrev_b32_e32 v29, 2, v28                              // 000000004870: 203A3882
	v_xor_b32_e32 v29, v30, v29                                // 000000004874: 2A3A3B1E
	v_mul_i32_i24_e32 v29, 8, v29                              // 000000004878: 0C3A3A88
	v_add_u32_e32 v18, v29, v18                                // 00000000487C: 6824251D
	s_and_b32 s60, 1, s46                                      // 000000004880: 863C2E81
	s_mul_i32 s60, s60, 64                                     // 000000004884: 923CC03C
	s_lshr_b32 s61, s46, 1                                     // 000000004888: 8F3D812E
	s_mul_i32 s61, s61, 0x120                                  // 00000000488C: 923DFF3D 00000120
	s_add_u32 s60, s60, s61                                    // 000000004894: 803C3D3C
	v_add_u32_e32 v18, s60, v18                                // 000000004898: 6824243C
	v_lshlrev_b32_e32 v18, 2, v18                              // 00000000489C: 24242482
	v_mov_b32_e32 v152, 0                                      // 0000000048A0: 7F300280
	s_mov_b64 exec, s[88:89]                                   // 0000000048A4: BEFE0158
	buffer_load_dword v152, v1, s[12:15], 0 idxen              // 0000000048A8: E0502000 80039801
	s_mov_b64 exec, s[86:87]                                   // 0000000048B0: BEFE0156
	v_mov_b32_e32 v153, 0                                      // 0000000048B4: 7F320280
	s_mov_b64 exec, s[88:89]                                   // 0000000048B8: BEFE0158
	buffer_load_dword v153, v2, s[12:15], 0 idxen              // 0000000048BC: E0502000 80039902
	s_mov_b64 exec, s[86:87]                                   // 0000000048C4: BEFE0156
	v_mov_b32_e32 v154, 0                                      // 0000000048C8: 7F340280
	s_mov_b64 exec, s[88:89]                                   // 0000000048CC: BEFE0158
	buffer_load_dword v154, v3, s[12:15], 0 idxen              // 0000000048D0: E0502000 80039A03
	s_mov_b64 exec, s[86:87]                                   // 0000000048D8: BEFE0156
	v_mov_b32_e32 v155, 0                                      // 0000000048DC: 7F360280
	s_mov_b64 exec, s[88:89]                                   // 0000000048E0: BEFE0158
	buffer_load_dword v155, v4, s[12:15], 0 idxen              // 0000000048E4: E0502000 80039B04
	s_mov_b64 exec, s[86:87]                                   // 0000000048EC: BEFE0156
	s_mul_i32 s60, 4, s6                                       // 0000000048F0: 923C0684
	s_cmp_lt_i32 0, s73                                        // 0000000048F4: BF044980
	s_cselect_b32 s60, s60, 0                                  // 0000000048F8: 853C803C
	v_add_u32_e32 v1, s60, v1                                  // 0000000048FC: 6802023C
	v_add_u32_e32 v2, s60, v2                                  // 000000004900: 6804043C
	v_add_u32_e32 v3, s60, v3                                  // 000000004904: 6806063C
	v_add_u32_e32 v4, s60, v4                                  // 000000004908: 6808083C
	v_mov_b32_e32 v156, 0                                      // 00000000490C: 7F380280
	s_mov_b64 exec, s[88:89]                                   // 000000004910: BEFE0158
	buffer_load_dword v156, v1, s[12:15], 0 idxen              // 000000004914: E0502000 80039C01
	s_mov_b64 exec, s[86:87]                                   // 00000000491C: BEFE0156
	v_mov_b32_e32 v157, 0                                      // 000000004920: 7F3A0280
	s_mov_b64 exec, s[88:89]                                   // 000000004924: BEFE0158
	buffer_load_dword v157, v2, s[12:15], 0 idxen              // 000000004928: E0502000 80039D02
	s_mov_b64 exec, s[86:87]                                   // 000000004930: BEFE0156
	v_mov_b32_e32 v158, 0                                      // 000000004934: 7F3C0280
	s_mov_b64 exec, s[88:89]                                   // 000000004938: BEFE0158
	buffer_load_dword v158, v3, s[12:15], 0 idxen              // 00000000493C: E0502000 80039E03
	s_mov_b64 exec, s[86:87]                                   // 000000004944: BEFE0156
	v_mov_b32_e32 v159, 0                                      // 000000004948: 7F3E0280
	s_mov_b64 exec, s[88:89]                                   // 00000000494C: BEFE0158
	buffer_load_dword v159, v4, s[12:15], 0 idxen              // 000000004950: E0502000 80039F04
	s_mov_b64 exec, s[86:87]                                   // 000000004958: BEFE0156
	s_mul_i32 s60, 4, s6                                       // 00000000495C: 923C0684
	s_cmp_lt_i32 0, s73                                        // 000000004960: BF044980
	s_cselect_b32 s60, s60, 0                                  // 000000004964: 853C803C
	v_add_u32_e32 v1, s60, v1                                  // 000000004968: 6802023C
	v_add_u32_e32 v2, s60, v2                                  // 00000000496C: 6804043C
	v_add_u32_e32 v3, s60, v3                                  // 000000004970: 6806063C
	v_add_u32_e32 v4, s60, v4                                  // 000000004974: 6808083C
	v_mov_b32_e32 v160, 0                                      // 000000004978: 7F400280
	s_mov_b64 exec, s[88:89]                                   // 00000000497C: BEFE0158
	buffer_load_dword v160, v1, s[12:15], 0 idxen              // 000000004980: E0502000 8003A001
	s_mov_b64 exec, s[86:87]                                   // 000000004988: BEFE0156
	v_mov_b32_e32 v161, 0                                      // 00000000498C: 7F420280
	s_mov_b64 exec, s[88:89]                                   // 000000004990: BEFE0158
	buffer_load_dword v161, v2, s[12:15], 0 idxen              // 000000004994: E0502000 8003A102
	s_mov_b64 exec, s[86:87]                                   // 00000000499C: BEFE0156
	v_mov_b32_e32 v162, 0                                      // 0000000049A0: 7F440280
	s_mov_b64 exec, s[88:89]                                   // 0000000049A4: BEFE0158
	buffer_load_dword v162, v3, s[12:15], 0 idxen              // 0000000049A8: E0502000 8003A203
	s_mov_b64 exec, s[86:87]                                   // 0000000049B0: BEFE0156
	v_mov_b32_e32 v163, 0                                      // 0000000049B4: 7F460280
	s_mov_b64 exec, s[88:89]                                   // 0000000049B8: BEFE0158
	buffer_load_dword v163, v4, s[12:15], 0 idxen              // 0000000049BC: E0502000 8003A304
	s_mov_b64 exec, s[86:87]                                   // 0000000049C4: BEFE0156
	s_mul_i32 s60, 4, s6                                       // 0000000049C8: 923C0684
	s_cmp_lt_i32 0, s73                                        // 0000000049CC: BF044980
	s_cselect_b32 s60, s60, 0                                  // 0000000049D0: 853C803C
	v_add_u32_e32 v1, s60, v1                                  // 0000000049D4: 6802023C
	v_add_u32_e32 v2, s60, v2                                  // 0000000049D8: 6804043C
	v_add_u32_e32 v3, s60, v3                                  // 0000000049DC: 6806063C
	v_add_u32_e32 v4, s60, v4                                  // 0000000049E0: 6808083C
	v_mov_b32_e32 v164, 0                                      // 0000000049E4: 7F480280
	s_mov_b64 exec, s[88:89]                                   // 0000000049E8: BEFE0158
	buffer_load_dword v164, v1, s[12:15], 0 idxen              // 0000000049EC: E0502000 8003A401
	s_mov_b64 exec, s[86:87]                                   // 0000000049F4: BEFE0156
	v_mov_b32_e32 v165, 0                                      // 0000000049F8: 7F4A0280
	s_mov_b64 exec, s[88:89]                                   // 0000000049FC: BEFE0158
	buffer_load_dword v165, v2, s[12:15], 0 idxen              // 000000004A00: E0502000 8003A502
	s_mov_b64 exec, s[86:87]                                   // 000000004A08: BEFE0156
	v_mov_b32_e32 v166, 0                                      // 000000004A0C: 7F4C0280
	s_mov_b64 exec, s[88:89]                                   // 000000004A10: BEFE0158
	buffer_load_dword v166, v3, s[12:15], 0 idxen              // 000000004A14: E0502000 8003A603
	s_mov_b64 exec, s[86:87]                                   // 000000004A1C: BEFE0156
	v_mov_b32_e32 v167, 0                                      // 000000004A20: 7F4E0280
	s_mov_b64 exec, s[88:89]                                   // 000000004A24: BEFE0158
	buffer_load_dword v167, v4, s[12:15], 0 idxen              // 000000004A28: E0502000 8003A704
	s_mov_b64 exec, s[86:87]                                   // 000000004A30: BEFE0156
	s_mul_i32 s60, 4, s6                                       // 000000004A34: 923C0684
	s_cmp_lt_i32 1, s73                                        // 000000004A38: BF044981
	s_cselect_b32 s60, s60, 0                                  // 000000004A3C: 853C803C
	v_add_u32_e32 v1, s60, v1                                  // 000000004A40: 6802023C
	v_add_u32_e32 v2, s60, v2                                  // 000000004A44: 6804043C
	v_add_u32_e32 v3, s60, v3                                  // 000000004A48: 6806063C
	v_add_u32_e32 v4, s60, v4                                  // 000000004A4C: 6808083C
	v_mov_b32_e32 v168, 0                                      // 000000004A50: 7F500280
	s_mov_b64 exec, s[88:89]                                   // 000000004A54: BEFE0158
	buffer_load_dword v168, v1, s[12:15], 0 idxen              // 000000004A58: E0502000 8003A801
	s_mov_b64 exec, s[86:87]                                   // 000000004A60: BEFE0156
	v_mov_b32_e32 v169, 0                                      // 000000004A64: 7F520280
	s_mov_b64 exec, s[88:89]                                   // 000000004A68: BEFE0158
	buffer_load_dword v169, v2, s[12:15], 0 idxen              // 000000004A6C: E0502000 8003A902
	s_mov_b64 exec, s[86:87]                                   // 000000004A74: BEFE0156
	v_mov_b32_e32 v170, 0                                      // 000000004A78: 7F540280
	s_mov_b64 exec, s[88:89]                                   // 000000004A7C: BEFE0158
	buffer_load_dword v170, v3, s[12:15], 0 idxen              // 000000004A80: E0502000 8003AA03
	s_mov_b64 exec, s[86:87]                                   // 000000004A88: BEFE0156
	v_mov_b32_e32 v171, 0                                      // 000000004A8C: 7F560280
	s_mov_b64 exec, s[88:89]                                   // 000000004A90: BEFE0158
	buffer_load_dword v171, v4, s[12:15], 0 idxen              // 000000004A94: E0502000 8003AB04
	s_mov_b64 exec, s[86:87]                                   // 000000004A9C: BEFE0156
	s_mul_i32 s60, 4, s6                                       // 000000004AA0: 923C0684
	s_cmp_lt_i32 1, s73                                        // 000000004AA4: BF044981
	s_cselect_b32 s60, s60, 0                                  // 000000004AA8: 853C803C
	v_add_u32_e32 v1, s60, v1                                  // 000000004AAC: 6802023C
	v_add_u32_e32 v2, s60, v2                                  // 000000004AB0: 6804043C
	v_add_u32_e32 v3, s60, v3                                  // 000000004AB4: 6806063C
	v_add_u32_e32 v4, s60, v4                                  // 000000004AB8: 6808083C
	v_mov_b32_e32 v172, 0                                      // 000000004ABC: 7F580280
	s_mov_b64 exec, s[88:89]                                   // 000000004AC0: BEFE0158
	buffer_load_dword v172, v1, s[12:15], 0 idxen              // 000000004AC4: E0502000 8003AC01
	s_mov_b64 exec, s[86:87]                                   // 000000004ACC: BEFE0156
	v_mov_b32_e32 v173, 0                                      // 000000004AD0: 7F5A0280
	s_mov_b64 exec, s[88:89]                                   // 000000004AD4: BEFE0158
	buffer_load_dword v173, v2, s[12:15], 0 idxen              // 000000004AD8: E0502000 8003AD02
	s_mov_b64 exec, s[86:87]                                   // 000000004AE0: BEFE0156
	v_mov_b32_e32 v174, 0                                      // 000000004AE4: 7F5C0280
	s_mov_b64 exec, s[88:89]                                   // 000000004AE8: BEFE0158
	buffer_load_dword v174, v3, s[12:15], 0 idxen              // 000000004AEC: E0502000 8003AE03
	s_mov_b64 exec, s[86:87]                                   // 000000004AF4: BEFE0156
	v_mov_b32_e32 v175, 0                                      // 000000004AF8: 7F5E0280
	s_mov_b64 exec, s[88:89]                                   // 000000004AFC: BEFE0158
	buffer_load_dword v175, v4, s[12:15], 0 idxen              // 000000004B00: E0502000 8003AF04
	s_mov_b64 exec, s[86:87]                                   // 000000004B08: BEFE0156
	s_mul_i32 s60, 4, s6                                       // 000000004B0C: 923C0684
	s_cmp_lt_i32 1, s73                                        // 000000004B10: BF044981
	s_cselect_b32 s60, s60, 0                                  // 000000004B14: 853C803C
	v_add_u32_e32 v1, s60, v1                                  // 000000004B18: 6802023C
	v_add_u32_e32 v2, s60, v2                                  // 000000004B1C: 6804043C
	v_add_u32_e32 v3, s60, v3                                  // 000000004B20: 6806063C
	v_add_u32_e32 v4, s60, v4                                  // 000000004B24: 6808083C
	v_mov_b32_e32 v176, 0                                      // 000000004B28: 7F600280
	s_mov_b64 exec, s[88:89]                                   // 000000004B2C: BEFE0158
	buffer_load_dword v176, v1, s[12:15], 0 idxen              // 000000004B30: E0502000 8003B001
	s_mov_b64 exec, s[86:87]                                   // 000000004B38: BEFE0156
	v_mov_b32_e32 v177, 0                                      // 000000004B3C: 7F620280
	s_mov_b64 exec, s[88:89]                                   // 000000004B40: BEFE0158
	buffer_load_dword v177, v2, s[12:15], 0 idxen              // 000000004B44: E0502000 8003B102
	s_mov_b64 exec, s[86:87]                                   // 000000004B4C: BEFE0156
	v_mov_b32_e32 v178, 0                                      // 000000004B50: 7F640280
	s_mov_b64 exec, s[88:89]                                   // 000000004B54: BEFE0158
	buffer_load_dword v178, v3, s[12:15], 0 idxen              // 000000004B58: E0502000 8003B203
	s_mov_b64 exec, s[86:87]                                   // 000000004B60: BEFE0156
	v_mov_b32_e32 v179, 0                                      // 000000004B64: 7F660280
	s_mov_b64 exec, s[88:89]                                   // 000000004B68: BEFE0158
	buffer_load_dword v179, v4, s[12:15], 0 idxen              // 000000004B6C: E0502000 8003B304
	s_mov_b64 exec, s[86:87]                                   // 000000004B74: BEFE0156
	s_mul_i32 s60, 4, s6                                       // 000000004B78: 923C0684
	s_cmp_lt_i32 1, s73                                        // 000000004B7C: BF044981
	s_cselect_b32 s60, s60, 0                                  // 000000004B80: 853C803C
	v_add_u32_e32 v1, s60, v1                                  // 000000004B84: 6802023C
	v_add_u32_e32 v2, s60, v2                                  // 000000004B88: 6804043C
	v_add_u32_e32 v3, s60, v3                                  // 000000004B8C: 6806063C
	v_add_u32_e32 v4, s60, v4                                  // 000000004B90: 6808083C
	v_mov_b32_e32 v180, 0                                      // 000000004B94: 7F680280
	s_mov_b64 exec, s[88:89]                                   // 000000004B98: BEFE0158
	buffer_load_dword v180, v1, s[12:15], 0 idxen              // 000000004B9C: E0502000 8003B401
	s_mov_b64 exec, s[86:87]                                   // 000000004BA4: BEFE0156
	v_mov_b32_e32 v181, 0                                      // 000000004BA8: 7F6A0280
	s_mov_b64 exec, s[88:89]                                   // 000000004BAC: BEFE0158
	buffer_load_dword v181, v2, s[12:15], 0 idxen              // 000000004BB0: E0502000 8003B502
	s_mov_b64 exec, s[86:87]                                   // 000000004BB8: BEFE0156
	v_mov_b32_e32 v182, 0                                      // 000000004BBC: 7F6C0280
	s_mov_b64 exec, s[88:89]                                   // 000000004BC0: BEFE0158
	buffer_load_dword v182, v3, s[12:15], 0 idxen              // 000000004BC4: E0502000 8003B603
	s_mov_b64 exec, s[86:87]                                   // 000000004BCC: BEFE0156
	v_mov_b32_e32 v183, 0                                      // 000000004BD0: 7F6E0280
	s_mov_b64 exec, s[88:89]                                   // 000000004BD4: BEFE0158
	buffer_load_dword v183, v4, s[12:15], 0 idxen              // 000000004BD8: E0502000 8003B704
	s_mov_b64 exec, s[86:87]                                   // 000000004BE0: BEFE0156
	s_mul_i32 s60, 4, s6                                       // 000000004BE4: 923C0684
	s_cmp_lt_i32 2, s73                                        // 000000004BE8: BF044982
	s_cselect_b32 s60, s60, 0                                  // 000000004BEC: 853C803C
	v_add_u32_e32 v1, s60, v1                                  // 000000004BF0: 6802023C
	v_add_u32_e32 v2, s60, v2                                  // 000000004BF4: 6804043C
	v_add_u32_e32 v3, s60, v3                                  // 000000004BF8: 6806063C
	v_add_u32_e32 v4, s60, v4                                  // 000000004BFC: 6808083C
	v_mov_b32_e32 v184, 0                                      // 000000004C00: 7F700280
	s_mov_b64 exec, s[88:89]                                   // 000000004C04: BEFE0158
	buffer_load_dword v184, v1, s[12:15], 0 idxen              // 000000004C08: E0502000 8003B801
	s_mov_b64 exec, s[86:87]                                   // 000000004C10: BEFE0156
	v_mov_b32_e32 v185, 0                                      // 000000004C14: 7F720280
	s_mov_b64 exec, s[88:89]                                   // 000000004C18: BEFE0158
	buffer_load_dword v185, v2, s[12:15], 0 idxen              // 000000004C1C: E0502000 8003B902
	s_mov_b64 exec, s[86:87]                                   // 000000004C24: BEFE0156
	v_mov_b32_e32 v186, 0                                      // 000000004C28: 7F740280
	s_mov_b64 exec, s[88:89]                                   // 000000004C2C: BEFE0158
	buffer_load_dword v186, v3, s[12:15], 0 idxen              // 000000004C30: E0502000 8003BA03
	s_mov_b64 exec, s[86:87]                                   // 000000004C38: BEFE0156
	v_mov_b32_e32 v187, 0                                      // 000000004C3C: 7F760280
	s_mov_b64 exec, s[88:89]                                   // 000000004C40: BEFE0158
	buffer_load_dword v187, v4, s[12:15], 0 idxen              // 000000004C44: E0502000 8003BB04
	s_mov_b64 exec, s[86:87]                                   // 000000004C4C: BEFE0156
	s_mul_i32 s60, 4, s6                                       // 000000004C50: 923C0684
	s_cmp_lt_i32 2, s73                                        // 000000004C54: BF044982
	s_cselect_b32 s60, s60, 0                                  // 000000004C58: 853C803C
	v_add_u32_e32 v1, s60, v1                                  // 000000004C5C: 6802023C
	v_add_u32_e32 v2, s60, v2                                  // 000000004C60: 6804043C
	v_add_u32_e32 v3, s60, v3                                  // 000000004C64: 6806063C
	v_add_u32_e32 v4, s60, v4                                  // 000000004C68: 6808083C
	v_mov_b32_e32 v188, 0                                      // 000000004C6C: 7F780280
	s_mov_b64 exec, s[88:89]                                   // 000000004C70: BEFE0158
	buffer_load_dword v188, v1, s[12:15], 0 idxen              // 000000004C74: E0502000 8003BC01
	s_mov_b64 exec, s[86:87]                                   // 000000004C7C: BEFE0156
	v_mov_b32_e32 v189, 0                                      // 000000004C80: 7F7A0280
	s_mov_b64 exec, s[88:89]                                   // 000000004C84: BEFE0158
	buffer_load_dword v189, v2, s[12:15], 0 idxen              // 000000004C88: E0502000 8003BD02
	s_mov_b64 exec, s[86:87]                                   // 000000004C90: BEFE0156
	v_mov_b32_e32 v190, 0                                      // 000000004C94: 7F7C0280
	s_mov_b64 exec, s[88:89]                                   // 000000004C98: BEFE0158
	buffer_load_dword v190, v3, s[12:15], 0 idxen              // 000000004C9C: E0502000 8003BE03
	s_mov_b64 exec, s[86:87]                                   // 000000004CA4: BEFE0156
	v_mov_b32_e32 v191, 0                                      // 000000004CA8: 7F7E0280
	s_mov_b64 exec, s[88:89]                                   // 000000004CAC: BEFE0158
	buffer_load_dword v191, v4, s[12:15], 0 idxen              // 000000004CB0: E0502000 8003BF04
	s_mov_b64 exec, s[86:87]                                   // 000000004CB8: BEFE0156
	s_mul_i32 s60, 4, s6                                       // 000000004CBC: 923C0684
	s_cmp_lt_i32 2, s73                                        // 000000004CC0: BF044982
	s_cselect_b32 s60, s60, 0                                  // 000000004CC4: 853C803C
	v_add_u32_e32 v1, s60, v1                                  // 000000004CC8: 6802023C
	v_add_u32_e32 v2, s60, v2                                  // 000000004CCC: 6804043C
	v_add_u32_e32 v3, s60, v3                                  // 000000004CD0: 6806063C
	v_add_u32_e32 v4, s60, v4                                  // 000000004CD4: 6808083C
	v_mov_b32_e32 v192, 0                                      // 000000004CD8: 7F800280
	s_mov_b64 exec, s[88:89]                                   // 000000004CDC: BEFE0158
	buffer_load_dword v192, v1, s[12:15], 0 idxen              // 000000004CE0: E0502000 8003C001
	s_mov_b64 exec, s[86:87]                                   // 000000004CE8: BEFE0156
	v_mov_b32_e32 v193, 0                                      // 000000004CEC: 7F820280
	s_mov_b64 exec, s[88:89]                                   // 000000004CF0: BEFE0158
	buffer_load_dword v193, v2, s[12:15], 0 idxen              // 000000004CF4: E0502000 8003C102
	s_mov_b64 exec, s[86:87]                                   // 000000004CFC: BEFE0156
	v_mov_b32_e32 v194, 0                                      // 000000004D00: 7F840280
	s_mov_b64 exec, s[88:89]                                   // 000000004D04: BEFE0158
	buffer_load_dword v194, v3, s[12:15], 0 idxen              // 000000004D08: E0502000 8003C203
	s_mov_b64 exec, s[86:87]                                   // 000000004D10: BEFE0156
	v_mov_b32_e32 v195, 0                                      // 000000004D14: 7F860280
	s_mov_b64 exec, s[88:89]                                   // 000000004D18: BEFE0158
	buffer_load_dword v195, v4, s[12:15], 0 idxen              // 000000004D1C: E0502000 8003C304
	s_mov_b64 exec, s[86:87]                                   // 000000004D24: BEFE0156
	s_mul_i32 s60, 4, s6                                       // 000000004D28: 923C0684
	s_cmp_lt_i32 2, s73                                        // 000000004D2C: BF044982
	s_cselect_b32 s60, s60, 0                                  // 000000004D30: 853C803C
	v_add_u32_e32 v1, s60, v1                                  // 000000004D34: 6802023C
	v_add_u32_e32 v2, s60, v2                                  // 000000004D38: 6804043C
	v_add_u32_e32 v3, s60, v3                                  // 000000004D3C: 6806063C
	v_add_u32_e32 v4, s60, v4                                  // 000000004D40: 6808083C
	v_mov_b32_e32 v196, 0                                      // 000000004D44: 7F880280
	s_mov_b64 exec, s[88:89]                                   // 000000004D48: BEFE0158
	buffer_load_dword v196, v1, s[12:15], 0 idxen              // 000000004D4C: E0502000 8003C401
	s_mov_b64 exec, s[86:87]                                   // 000000004D54: BEFE0156
	v_mov_b32_e32 v197, 0                                      // 000000004D58: 7F8A0280
	s_mov_b64 exec, s[88:89]                                   // 000000004D5C: BEFE0158
	buffer_load_dword v197, v2, s[12:15], 0 idxen              // 000000004D60: E0502000 8003C502
	s_mov_b64 exec, s[86:87]                                   // 000000004D68: BEFE0156
	v_mov_b32_e32 v198, 0                                      // 000000004D6C: 7F8C0280
	s_mov_b64 exec, s[88:89]                                   // 000000004D70: BEFE0158
	buffer_load_dword v198, v3, s[12:15], 0 idxen              // 000000004D74: E0502000 8003C603
	s_mov_b64 exec, s[86:87]                                   // 000000004D7C: BEFE0156
	v_mov_b32_e32 v199, 0                                      // 000000004D80: 7F8E0280
	s_mov_b64 exec, s[88:89]                                   // 000000004D84: BEFE0158
	buffer_load_dword v199, v4, s[12:15], 0 idxen              // 000000004D88: E0502000 8003C704
	s_mov_b64 exec, s[86:87]                                   // 000000004D90: BEFE0156
	s_mul_i32 s60, 4, s6                                       // 000000004D94: 923C0684
	s_cmp_lt_i32 3, s73                                        // 000000004D98: BF044983
	s_cselect_b32 s60, s60, 0                                  // 000000004D9C: 853C803C
	v_add_u32_e32 v1, s60, v1                                  // 000000004DA0: 6802023C
	v_add_u32_e32 v2, s60, v2                                  // 000000004DA4: 6804043C
	v_add_u32_e32 v3, s60, v3                                  // 000000004DA8: 6806063C
	v_add_u32_e32 v4, s60, v4                                  // 000000004DAC: 6808083C
	s_waitcnt vmcnt(32) lgkmcnt(0)                             // 000000004DB0: BF8C8070
	s_barrier                                                  // 000000004DB4: BF8A0000
	s_cmp_lt_i32 0, s73                                        // 000000004DB8: BF044980
	s_cbranch_scc1 label_0400                                  // 000000004DBC: BF850010
	v_mov_b32_e32 v152, 0                                      // 000000004DC0: 7F300280
	v_mov_b32_e32 v153, 0                                      // 000000004DC4: 7F320280
	v_mov_b32_e32 v154, 0                                      // 000000004DC8: 7F340280
	v_mov_b32_e32 v155, 0                                      // 000000004DCC: 7F360280
	v_mov_b32_e32 v156, 0                                      // 000000004DD0: 7F380280
	v_mov_b32_e32 v157, 0                                      // 000000004DD4: 7F3A0280
	v_mov_b32_e32 v158, 0                                      // 000000004DD8: 7F3C0280
	v_mov_b32_e32 v159, 0                                      // 000000004DDC: 7F3E0280
	v_mov_b32_e32 v160, 0                                      // 000000004DE0: 7F400280
	v_mov_b32_e32 v161, 0                                      // 000000004DE4: 7F420280
	v_mov_b32_e32 v162, 0                                      // 000000004DE8: 7F440280
	v_mov_b32_e32 v163, 0                                      // 000000004DEC: 7F460280
	v_mov_b32_e32 v164, 0                                      // 000000004DF0: 7F480280
	v_mov_b32_e32 v165, 0                                      // 000000004DF4: 7F4A0280
	v_mov_b32_e32 v166, 0                                      // 000000004DF8: 7F4C0280
	v_mov_b32_e32 v167, 0                                      // 000000004DFC: 7F4E0280

0000000000004e00 <label_0400>:
	v_perm_b32 v200, v153, v152, s63                           // 000000004E00: D1ED00C8 00FF3199
	v_perm_b32 v201, v153, v152, s64                           // 000000004E08: D1ED00C9 01033199
	v_perm_b32 v202, v155, v154, s63                           // 000000004E10: D1ED00CA 00FF359B
	v_perm_b32 v203, v155, v154, s64                           // 000000004E18: D1ED00CB 0103359B
	v_perm_b32 v204, v157, v156, s63                           // 000000004E20: D1ED00CC 00FF399D
	v_perm_b32 v205, v157, v156, s64                           // 000000004E28: D1ED00CD 0103399D
	v_perm_b32 v206, v159, v158, s63                           // 000000004E30: D1ED00CE 00FF3D9F
	v_perm_b32 v207, v159, v158, s64                           // 000000004E38: D1ED00CF 01033D9F
	v_perm_b32 v208, v161, v160, s63                           // 000000004E40: D1ED00D0 00FF41A1
	v_perm_b32 v209, v161, v160, s64                           // 000000004E48: D1ED00D1 010341A1
	v_perm_b32 v210, v163, v162, s63                           // 000000004E50: D1ED00D2 00FF45A3
	v_perm_b32 v211, v163, v162, s64                           // 000000004E58: D1ED00D3 010345A3
	v_perm_b32 v212, v165, v164, s63                           // 000000004E60: D1ED00D4 00FF49A5
	v_perm_b32 v213, v165, v164, s64                           // 000000004E68: D1ED00D5 010349A5
	v_perm_b32 v214, v167, v166, s63                           // 000000004E70: D1ED00D6 00FF4DA7
	v_perm_b32 v215, v167, v166, s64                           // 000000004E78: D1ED00D7 01034DA7
	ds_write_b32 v13, v200 offset:17408                        // 000000004E80: D81A4400 0000C80D
	ds_write_b32 v13, v201 offset:18464                        // 000000004E88: D81A4820 0000C90D
	ds_write_b32 v13, v202 offset:17536                        // 000000004E90: D81A4480 0000CA0D
	ds_write_b32 v13, v203 offset:18592                        // 000000004E98: D81A48A0 0000CB0D
	ds_write_b32 v13, v204 offset:21760                        // 000000004EA0: D81A5500 0000CC0D
	ds_write_b32 v13, v205 offset:22816                        // 000000004EA8: D81A5920 0000CD0D
	ds_write_b32 v13, v206 offset:21888                        // 000000004EB0: D81A5580 0000CE0D
	ds_write_b32 v13, v207 offset:22944                        // 000000004EB8: D81A59A0 0000CF0D
	ds_write_b32 v13, v208 offset:26112                        // 000000004EC0: D81A6600 0000D00D
	ds_write_b32 v13, v209 offset:27168                        // 000000004EC8: D81A6A20 0000D10D
	ds_write_b32 v13, v210 offset:26240                        // 000000004ED0: D81A6680 0000D20D
	ds_write_b32 v13, v211 offset:27296                        // 000000004ED8: D81A6AA0 0000D30D
	ds_write_b32 v13, v212 offset:30464                        // 000000004EE0: D81A7700 0000D40D
	ds_write_b32 v13, v213 offset:31520                        // 000000004EE8: D81A7B20 0000D50D
	ds_write_b32 v13, v214 offset:30592                        // 000000004EF0: D81A7780 0000D60D
	ds_write_b32 v13, v215 offset:31648                        // 000000004EF8: D81A7BA0 0000D70D
	ds_write_b32 v11, v152                                     // 000000004F00: D81A0000 0000980B
	ds_write_b32 v11, v153 offset:1056                         // 000000004F08: D81A0420 0000990B
	ds_write_b32 v11, v154 offset:128                          // 000000004F10: D81A0080 00009A0B
	ds_write_b32 v11, v155 offset:1184                         // 000000004F18: D81A04A0 00009B0B
	ds_write_b32 v11, v156 offset:4352                         // 000000004F20: D81A1100 00009C0B
	ds_write_b32 v11, v157 offset:5408                         // 000000004F28: D81A1520 00009D0B
	ds_write_b32 v11, v158 offset:4480                         // 000000004F30: D81A1180 00009E0B
	ds_write_b32 v11, v159 offset:5536                         // 000000004F38: D81A15A0 00009F0B
	ds_write_b32 v11, v160 offset:8704                         // 000000004F40: D81A2200 0000A00B
	ds_write_b32 v11, v161 offset:9760                         // 000000004F48: D81A2620 0000A10B
	ds_write_b32 v11, v162 offset:8832                         // 000000004F50: D81A2280 0000A20B
	ds_write_b32 v11, v163 offset:9888                         // 000000004F58: D81A26A0 0000A30B
	ds_write_b32 v11, v164 offset:13056                        // 000000004F60: D81A3300 0000A40B
	ds_write_b32 v11, v165 offset:14112                        // 000000004F68: D81A3720 0000A50B
	ds_write_b32 v11, v166 offset:13184                        // 000000004F70: D81A3380 0000A60B
	ds_write_b32 v11, v167 offset:14240                        // 000000004F78: D81A37A0 0000A70B
	v_mov_b32_e32 v152, 0                                      // 000000004F80: 7F300280
	s_mov_b64 exec, s[88:89]                                   // 000000004F84: BEFE0158
	buffer_load_dword v152, v252, s[16:19], 0 idxen            // 000000004F88: E0502000 800498FC
	s_mov_b64 exec, s[86:87]                                   // 000000004F90: BEFE0156
	v_mov_b32_e32 v153, 0                                      // 000000004F94: 7F320280
	s_mov_b64 exec, s[88:89]                                   // 000000004F98: BEFE0158
	buffer_load_dword v153, v253, s[16:19], 0 idxen            // 000000004F9C: E0502000 800499FD
	s_mov_b64 exec, s[86:87]                                   // 000000004FA4: BEFE0156
	v_mov_b32_e32 v154, 0                                      // 000000004FA8: 7F340280
	s_mov_b64 exec, s[88:89]                                   // 000000004FAC: BEFE0158
	buffer_load_dword v154, v254, s[16:19], 0 idxen            // 000000004FB0: E0502000 80049AFE
	s_mov_b64 exec, s[86:87]                                   // 000000004FB8: BEFE0156
	v_mov_b32_e32 v155, 0                                      // 000000004FBC: 7F360280
	s_mov_b64 exec, s[88:89]                                   // 000000004FC0: BEFE0158
	buffer_load_dword v155, v255, s[16:19], 0 idxen            // 000000004FC4: E0502000 80049BFF
	s_mov_b64 exec, s[86:87]                                   // 000000004FCC: BEFE0156
	s_mul_i32 s60, 4, s7                                       // 000000004FD0: 923C0784
	s_cmp_lt_i32 0, s73                                        // 000000004FD4: BF044980
	s_cselect_b32 s60, s60, 0                                  // 000000004FD8: 853C803C
	v_add_u32_e32 v252, s60, v252                              // 000000004FDC: 69F9F83C
	v_add_u32_e32 v253, s60, v253                              // 000000004FE0: 69FBFA3C
	v_add_u32_e32 v254, s60, v254                              // 000000004FE4: 69FDFC3C
	v_add_u32_e32 v255, s60, v255                              // 000000004FE8: 69FFFE3C
	v_mov_b32_e32 v156, 0                                      // 000000004FEC: 7F380280
	s_mov_b64 exec, s[88:89]                                   // 000000004FF0: BEFE0158
	buffer_load_dword v156, v252, s[16:19], 0 idxen            // 000000004FF4: E0502000 80049CFC
	s_mov_b64 exec, s[86:87]                                   // 000000004FFC: BEFE0156
	v_mov_b32_e32 v157, 0                                      // 000000005000: 7F3A0280
	s_mov_b64 exec, s[88:89]                                   // 000000005004: BEFE0158
	buffer_load_dword v157, v253, s[16:19], 0 idxen            // 000000005008: E0502000 80049DFD
	s_mov_b64 exec, s[86:87]                                   // 000000005010: BEFE0156
	v_mov_b32_e32 v158, 0                                      // 000000005014: 7F3C0280
	s_mov_b64 exec, s[88:89]                                   // 000000005018: BEFE0158
	buffer_load_dword v158, v254, s[16:19], 0 idxen            // 00000000501C: E0502000 80049EFE
	s_mov_b64 exec, s[86:87]                                   // 000000005024: BEFE0156
	v_mov_b32_e32 v159, 0                                      // 000000005028: 7F3E0280
	s_mov_b64 exec, s[88:89]                                   // 00000000502C: BEFE0158
	buffer_load_dword v159, v255, s[16:19], 0 idxen            // 000000005030: E0502000 80049FFF
	s_mov_b64 exec, s[86:87]                                   // 000000005038: BEFE0156
	s_mul_i32 s60, 4, s7                                       // 00000000503C: 923C0784
	s_cmp_lt_i32 0, s73                                        // 000000005040: BF044980
	s_cselect_b32 s60, s60, 0                                  // 000000005044: 853C803C
	v_add_u32_e32 v252, s60, v252                              // 000000005048: 69F9F83C
	v_add_u32_e32 v253, s60, v253                              // 00000000504C: 69FBFA3C
	v_add_u32_e32 v254, s60, v254                              // 000000005050: 69FDFC3C
	v_add_u32_e32 v255, s60, v255                              // 000000005054: 69FFFE3C
	v_mov_b32_e32 v160, 0                                      // 000000005058: 7F400280
	s_mov_b64 exec, s[88:89]                                   // 00000000505C: BEFE0158
	buffer_load_dword v160, v252, s[16:19], 0 idxen            // 000000005060: E0502000 8004A0FC
	s_mov_b64 exec, s[86:87]                                   // 000000005068: BEFE0156
	v_mov_b32_e32 v161, 0                                      // 00000000506C: 7F420280
	s_mov_b64 exec, s[88:89]                                   // 000000005070: BEFE0158
	buffer_load_dword v161, v253, s[16:19], 0 idxen            // 000000005074: E0502000 8004A1FD
	s_mov_b64 exec, s[86:87]                                   // 00000000507C: BEFE0156
	v_mov_b32_e32 v162, 0                                      // 000000005080: 7F440280
	s_mov_b64 exec, s[88:89]                                   // 000000005084: BEFE0158
	buffer_load_dword v162, v254, s[16:19], 0 idxen            // 000000005088: E0502000 8004A2FE
	s_mov_b64 exec, s[86:87]                                   // 000000005090: BEFE0156
	v_mov_b32_e32 v163, 0                                      // 000000005094: 7F460280
	s_mov_b64 exec, s[88:89]                                   // 000000005098: BEFE0158
	buffer_load_dword v163, v255, s[16:19], 0 idxen            // 00000000509C: E0502000 8004A3FF
	s_mov_b64 exec, s[86:87]                                   // 0000000050A4: BEFE0156
	s_mul_i32 s60, 4, s7                                       // 0000000050A8: 923C0784
	s_cmp_lt_i32 0, s73                                        // 0000000050AC: BF044980
	s_cselect_b32 s60, s60, 0                                  // 0000000050B0: 853C803C
	v_add_u32_e32 v252, s60, v252                              // 0000000050B4: 69F9F83C
	v_add_u32_e32 v253, s60, v253                              // 0000000050B8: 69FBFA3C
	v_add_u32_e32 v254, s60, v254                              // 0000000050BC: 69FDFC3C
	v_add_u32_e32 v255, s60, v255                              // 0000000050C0: 69FFFE3C
	v_mov_b32_e32 v164, 0                                      // 0000000050C4: 7F480280
	s_mov_b64 exec, s[88:89]                                   // 0000000050C8: BEFE0158
	buffer_load_dword v164, v252, s[16:19], 0 idxen            // 0000000050CC: E0502000 8004A4FC
	s_mov_b64 exec, s[86:87]                                   // 0000000050D4: BEFE0156
	v_mov_b32_e32 v165, 0                                      // 0000000050D8: 7F4A0280
	s_mov_b64 exec, s[88:89]                                   // 0000000050DC: BEFE0158
	buffer_load_dword v165, v253, s[16:19], 0 idxen            // 0000000050E0: E0502000 8004A5FD
	s_mov_b64 exec, s[86:87]                                   // 0000000050E8: BEFE0156
	v_mov_b32_e32 v166, 0                                      // 0000000050EC: 7F4C0280
	s_mov_b64 exec, s[88:89]                                   // 0000000050F0: BEFE0158
	buffer_load_dword v166, v254, s[16:19], 0 idxen            // 0000000050F4: E0502000 8004A6FE
	s_mov_b64 exec, s[86:87]                                   // 0000000050FC: BEFE0156
	v_mov_b32_e32 v167, 0                                      // 000000005100: 7F4E0280
	s_mov_b64 exec, s[88:89]                                   // 000000005104: BEFE0158
	buffer_load_dword v167, v255, s[16:19], 0 idxen            // 000000005108: E0502000 8004A7FF
	s_mov_b64 exec, s[86:87]                                   // 000000005110: BEFE0156
	s_mul_i32 s60, 4, s7                                       // 000000005114: 923C0784
	s_cmp_lt_i32 1, s73                                        // 000000005118: BF044981
	s_cselect_b32 s60, s60, 0                                  // 00000000511C: 853C803C
	v_add_u32_e32 v252, s60, v252                              // 000000005120: 69F9F83C
	v_add_u32_e32 v253, s60, v253                              // 000000005124: 69FBFA3C
	v_add_u32_e32 v254, s60, v254                              // 000000005128: 69FDFC3C
	v_add_u32_e32 v255, s60, v255                              // 00000000512C: 69FFFE3C
	s_waitcnt lgkmcnt(0)                                       // 000000005130: BF8CC07F
	s_barrier                                                  // 000000005134: BF8A0000
	ds_read_b128 a[48:51], v23 offset:17408                    // 000000005138: DBFE4400 30000017
	ds_read_b128 a[52:55], v23 offset:17664                    // 000000005140: DBFE4500 34000017
	ds_read_b128 a[56:59], v23 offset:26112                    // 000000005148: DBFE6600 38000017
	ds_read_b128 a[60:63], v23 offset:26368                    // 000000005150: DBFE6700 3C000017
	ds_read_b128 a[0:3], v22                                   // 000000005158: DBFE0000 00000016
	ds_read_b128 a[4:7], v22 offset:512                        // 000000005160: DBFE0200 04000016
	ds_read_b128 a[8:11], v22 offset:2176                      // 000000005168: DBFE0880 08000016
	ds_read_b128 a[12:15], v22 offset:2688                     // 000000005170: DBFE0A80 0C000016
	s_waitcnt vmcnt(32) lgkmcnt(0)                             // 000000005178: BF8C8070
	s_barrier                                                  // 00000000517C: BF8A0000
	s_cmp_lt_i32 1, s73                                        // 000000005180: BF044981
	s_cbranch_scc1 label_04F2                                  // 000000005184: BF850010
	v_mov_b32_e32 v168, 0                                      // 000000005188: 7F500280
	v_mov_b32_e32 v169, 0                                      // 00000000518C: 7F520280
	v_mov_b32_e32 v170, 0                                      // 000000005190: 7F540280
	v_mov_b32_e32 v171, 0                                      // 000000005194: 7F560280
	v_mov_b32_e32 v172, 0                                      // 000000005198: 7F580280
	v_mov_b32_e32 v173, 0                                      // 00000000519C: 7F5A0280
	v_mov_b32_e32 v174, 0                                      // 0000000051A0: 7F5C0280
	v_mov_b32_e32 v175, 0                                      // 0000000051A4: 7F5E0280
	v_mov_b32_e32 v176, 0                                      // 0000000051A8: 7F600280
	v_mov_b32_e32 v177, 0                                      // 0000000051AC: 7F620280
	v_mov_b32_e32 v178, 0                                      // 0000000051B0: 7F640280
	v_mov_b32_e32 v179, 0                                      // 0000000051B4: 7F660280
	v_mov_b32_e32 v180, 0                                      // 0000000051B8: 7F680280
	v_mov_b32_e32 v181, 0                                      // 0000000051BC: 7F6A0280
	v_mov_b32_e32 v182, 0                                      // 0000000051C0: 7F6C0280
	v_mov_b32_e32 v183, 0                                      // 0000000051C4: 7F6E0280

00000000000051c8 <label_04F2>:
	v_perm_b32 v200, v169, v168, s63                           // 0000000051C8: D1ED00C8 00FF51A9
	v_perm_b32 v201, v169, v168, s64                           // 0000000051D0: D1ED00C9 010351A9
	v_perm_b32 v202, v171, v170, s63                           // 0000000051D8: D1ED00CA 00FF55AB
	v_perm_b32 v203, v171, v170, s64                           // 0000000051E0: D1ED00CB 010355AB
	v_perm_b32 v204, v173, v172, s63                           // 0000000051E8: D1ED00CC 00FF59AD
	v_perm_b32 v205, v173, v172, s64                           // 0000000051F0: D1ED00CD 010359AD
	v_perm_b32 v206, v175, v174, s63                           // 0000000051F8: D1ED00CE 00FF5DAF
	v_perm_b32 v207, v175, v174, s64                           // 000000005200: D1ED00CF 01035DAF
	v_perm_b32 v208, v177, v176, s63                           // 000000005208: D1ED00D0 00FF61B1
	v_perm_b32 v209, v177, v176, s64                           // 000000005210: D1ED00D1 010361B1
	v_perm_b32 v210, v179, v178, s63                           // 000000005218: D1ED00D2 00FF65B3
	v_perm_b32 v211, v179, v178, s64                           // 000000005220: D1ED00D3 010365B3
	v_perm_b32 v212, v181, v180, s63                           // 000000005228: D1ED00D4 00FF69B5
	v_perm_b32 v213, v181, v180, s64                           // 000000005230: D1ED00D5 010369B5
	v_perm_b32 v214, v183, v182, s63                           // 000000005238: D1ED00D6 00FF6DB7
	v_perm_b32 v215, v183, v182, s64                           // 000000005240: D1ED00D7 01036DB7
	ds_write_b32 v13, v200 offset:17408                        // 000000005248: D81A4400 0000C80D
	ds_write_b32 v13, v201 offset:18464                        // 000000005250: D81A4820 0000C90D
	ds_write_b32 v13, v202 offset:17536                        // 000000005258: D81A4480 0000CA0D
	ds_write_b32 v13, v203 offset:18592                        // 000000005260: D81A48A0 0000CB0D
	ds_write_b32 v13, v204 offset:21760                        // 000000005268: D81A5500 0000CC0D
	ds_write_b32 v13, v205 offset:22816                        // 000000005270: D81A5920 0000CD0D
	ds_write_b32 v13, v206 offset:21888                        // 000000005278: D81A5580 0000CE0D
	ds_write_b32 v13, v207 offset:22944                        // 000000005280: D81A59A0 0000CF0D
	ds_write_b32 v13, v208 offset:26112                        // 000000005288: D81A6600 0000D00D
	ds_write_b32 v13, v209 offset:27168                        // 000000005290: D81A6A20 0000D10D
	ds_write_b32 v13, v210 offset:26240                        // 000000005298: D81A6680 0000D20D
	ds_write_b32 v13, v211 offset:27296                        // 0000000052A0: D81A6AA0 0000D30D
	ds_write_b32 v13, v212 offset:30464                        // 0000000052A8: D81A7700 0000D40D
	ds_write_b32 v13, v213 offset:31520                        // 0000000052B0: D81A7B20 0000D50D
	ds_write_b32 v13, v214 offset:30592                        // 0000000052B8: D81A7780 0000D60D
	ds_write_b32 v13, v215 offset:31648                        // 0000000052C0: D81A7BA0 0000D70D
	ds_write_b32 v11, v168                                     // 0000000052C8: D81A0000 0000A80B
	ds_write_b32 v11, v169 offset:1056                         // 0000000052D0: D81A0420 0000A90B
	ds_write_b32 v11, v170 offset:128                          // 0000000052D8: D81A0080 0000AA0B
	ds_write_b32 v11, v171 offset:1184                         // 0000000052E0: D81A04A0 0000AB0B
	ds_write_b32 v11, v172 offset:4352                         // 0000000052E8: D81A1100 0000AC0B
	ds_write_b32 v11, v173 offset:5408                         // 0000000052F0: D81A1520 0000AD0B
	ds_write_b32 v11, v174 offset:4480                         // 0000000052F8: D81A1180 0000AE0B
	ds_write_b32 v11, v175 offset:5536                         // 000000005300: D81A15A0 0000AF0B
	ds_write_b32 v11, v176 offset:8704                         // 000000005308: D81A2200 0000B00B
	ds_write_b32 v11, v177 offset:9760                         // 000000005310: D81A2620 0000B10B
	ds_write_b32 v11, v178 offset:8832                         // 000000005318: D81A2280 0000B20B
	ds_write_b32 v11, v179 offset:9888                         // 000000005320: D81A26A0 0000B30B
	ds_write_b32 v11, v180 offset:13056                        // 000000005328: D81A3300 0000B40B
	ds_write_b32 v11, v181 offset:14112                        // 000000005330: D81A3720 0000B50B
	ds_write_b32 v11, v182 offset:13184                        // 000000005338: D81A3380 0000B60B
	ds_write_b32 v11, v183 offset:14240                        // 000000005340: D81A37A0 0000B70B
	v_mov_b32_e32 v168, 0                                      // 000000005348: 7F500280
	s_mov_b64 exec, s[88:89]                                   // 00000000534C: BEFE0158
	buffer_load_dword v168, v252, s[16:19], 0 idxen            // 000000005350: E0502000 8004A8FC
	s_mov_b64 exec, s[86:87]                                   // 000000005358: BEFE0156
	v_mov_b32_e32 v169, 0                                      // 00000000535C: 7F520280
	s_mov_b64 exec, s[88:89]                                   // 000000005360: BEFE0158
	buffer_load_dword v169, v253, s[16:19], 0 idxen            // 000000005364: E0502000 8004A9FD
	s_mov_b64 exec, s[86:87]                                   // 00000000536C: BEFE0156
	v_mov_b32_e32 v170, 0                                      // 000000005370: 7F540280
	s_mov_b64 exec, s[88:89]                                   // 000000005374: BEFE0158
	buffer_load_dword v170, v254, s[16:19], 0 idxen            // 000000005378: E0502000 8004AAFE
	s_mov_b64 exec, s[86:87]                                   // 000000005380: BEFE0156
	v_mov_b32_e32 v171, 0                                      // 000000005384: 7F560280
	s_mov_b64 exec, s[88:89]                                   // 000000005388: BEFE0158
	buffer_load_dword v171, v255, s[16:19], 0 idxen            // 00000000538C: E0502000 8004ABFF
	s_mov_b64 exec, s[86:87]                                   // 000000005394: BEFE0156
	s_mul_i32 s60, 4, s7                                       // 000000005398: 923C0784
	s_cmp_lt_i32 1, s73                                        // 00000000539C: BF044981
	s_cselect_b32 s60, s60, 0                                  // 0000000053A0: 853C803C
	v_add_u32_e32 v252, s60, v252                              // 0000000053A4: 69F9F83C
	v_add_u32_e32 v253, s60, v253                              // 0000000053A8: 69FBFA3C
	v_add_u32_e32 v254, s60, v254                              // 0000000053AC: 69FDFC3C
	v_add_u32_e32 v255, s60, v255                              // 0000000053B0: 69FFFE3C
	v_mov_b32_e32 v172, 0                                      // 0000000053B4: 7F580280
	s_mov_b64 exec, s[88:89]                                   // 0000000053B8: BEFE0158
	buffer_load_dword v172, v252, s[16:19], 0 idxen            // 0000000053BC: E0502000 8004ACFC
	s_mov_b64 exec, s[86:87]                                   // 0000000053C4: BEFE0156
	v_mov_b32_e32 v173, 0                                      // 0000000053C8: 7F5A0280
	s_mov_b64 exec, s[88:89]                                   // 0000000053CC: BEFE0158
	buffer_load_dword v173, v253, s[16:19], 0 idxen            // 0000000053D0: E0502000 8004ADFD
	s_mov_b64 exec, s[86:87]                                   // 0000000053D8: BEFE0156
	v_mov_b32_e32 v174, 0                                      // 0000000053DC: 7F5C0280
	s_mov_b64 exec, s[88:89]                                   // 0000000053E0: BEFE0158
	buffer_load_dword v174, v254, s[16:19], 0 idxen            // 0000000053E4: E0502000 8004AEFE
	s_mov_b64 exec, s[86:87]                                   // 0000000053EC: BEFE0156
	v_mov_b32_e32 v175, 0                                      // 0000000053F0: 7F5E0280
	s_mov_b64 exec, s[88:89]                                   // 0000000053F4: BEFE0158
	buffer_load_dword v175, v255, s[16:19], 0 idxen            // 0000000053F8: E0502000 8004AFFF
	s_mov_b64 exec, s[86:87]                                   // 000000005400: BEFE0156
	s_mul_i32 s60, 4, s7                                       // 000000005404: 923C0784
	s_cmp_lt_i32 1, s73                                        // 000000005408: BF044981
	s_cselect_b32 s60, s60, 0                                  // 00000000540C: 853C803C
	v_add_u32_e32 v252, s60, v252                              // 000000005410: 69F9F83C
	v_add_u32_e32 v253, s60, v253                              // 000000005414: 69FBFA3C
	v_add_u32_e32 v254, s60, v254                              // 000000005418: 69FDFC3C
	v_add_u32_e32 v255, s60, v255                              // 00000000541C: 69FFFE3C
	v_mov_b32_e32 v176, 0                                      // 000000005420: 7F600280
	s_mov_b64 exec, s[88:89]                                   // 000000005424: BEFE0158
	buffer_load_dword v176, v252, s[16:19], 0 idxen            // 000000005428: E0502000 8004B0FC
	s_mov_b64 exec, s[86:87]                                   // 000000005430: BEFE0156
	v_mov_b32_e32 v177, 0                                      // 000000005434: 7F620280
	s_mov_b64 exec, s[88:89]                                   // 000000005438: BEFE0158
	buffer_load_dword v177, v253, s[16:19], 0 idxen            // 00000000543C: E0502000 8004B1FD
	s_mov_b64 exec, s[86:87]                                   // 000000005444: BEFE0156
	v_mov_b32_e32 v178, 0                                      // 000000005448: 7F640280
	s_mov_b64 exec, s[88:89]                                   // 00000000544C: BEFE0158
	buffer_load_dword v178, v254, s[16:19], 0 idxen            // 000000005450: E0502000 8004B2FE
	s_mov_b64 exec, s[86:87]                                   // 000000005458: BEFE0156
	v_mov_b32_e32 v179, 0                                      // 00000000545C: 7F660280
	s_mov_b64 exec, s[88:89]                                   // 000000005460: BEFE0158
	buffer_load_dword v179, v255, s[16:19], 0 idxen            // 000000005464: E0502000 8004B3FF
	s_mov_b64 exec, s[86:87]                                   // 00000000546C: BEFE0156
	s_mul_i32 s60, 4, s7                                       // 000000005470: 923C0784
	s_cmp_lt_i32 1, s73                                        // 000000005474: BF044981
	s_cselect_b32 s60, s60, 0                                  // 000000005478: 853C803C
	v_add_u32_e32 v252, s60, v252                              // 00000000547C: 69F9F83C
	v_add_u32_e32 v253, s60, v253                              // 000000005480: 69FBFA3C
	v_add_u32_e32 v254, s60, v254                              // 000000005484: 69FDFC3C
	v_add_u32_e32 v255, s60, v255                              // 000000005488: 69FFFE3C
	v_mov_b32_e32 v180, 0                                      // 00000000548C: 7F680280
	s_mov_b64 exec, s[88:89]                                   // 000000005490: BEFE0158
	buffer_load_dword v180, v252, s[16:19], 0 idxen            // 000000005494: E0502000 8004B4FC
	s_mov_b64 exec, s[86:87]                                   // 00000000549C: BEFE0156
	v_mov_b32_e32 v181, 0                                      // 0000000054A0: 7F6A0280
	s_mov_b64 exec, s[88:89]                                   // 0000000054A4: BEFE0158
	buffer_load_dword v181, v253, s[16:19], 0 idxen            // 0000000054A8: E0502000 8004B5FD
	s_mov_b64 exec, s[86:87]                                   // 0000000054B0: BEFE0156
	v_mov_b32_e32 v182, 0                                      // 0000000054B4: 7F6C0280
	s_mov_b64 exec, s[88:89]                                   // 0000000054B8: BEFE0158
	buffer_load_dword v182, v254, s[16:19], 0 idxen            // 0000000054BC: E0502000 8004B6FE
	s_mov_b64 exec, s[86:87]                                   // 0000000054C4: BEFE0156
	v_mov_b32_e32 v183, 0                                      // 0000000054C8: 7F6E0280
	s_mov_b64 exec, s[88:89]                                   // 0000000054CC: BEFE0158
	buffer_load_dword v183, v255, s[16:19], 0 idxen            // 0000000054D0: E0502000 8004B7FF
	s_mov_b64 exec, s[86:87]                                   // 0000000054D8: BEFE0156
	s_mul_i32 s60, 4, s7                                       // 0000000054DC: 923C0784
	s_cmp_lt_i32 2, s73                                        // 0000000054E0: BF044982
	s_cselect_b32 s60, s60, 0                                  // 0000000054E4: 853C803C
	v_add_u32_e32 v252, s60, v252                              // 0000000054E8: 69F9F83C
	v_add_u32_e32 v253, s60, v253                              // 0000000054EC: 69FBFA3C
	v_add_u32_e32 v254, s60, v254                              // 0000000054F0: 69FDFC3C
	v_add_u32_e32 v255, s60, v255                              // 0000000054F4: 69FFFE3C
	s_waitcnt lgkmcnt(0)                                       // 0000000054F8: BF8CC07F
	s_barrier                                                  // 0000000054FC: BF8A0000
	ds_read_b128 a[64:67], v23 offset:17408                    // 000000005500: DBFE4400 40000017
	ds_read_b128 a[68:71], v23 offset:17664                    // 000000005508: DBFE4500 44000017
	ds_read_b128 a[72:75], v23 offset:26112                    // 000000005510: DBFE6600 48000017
	ds_read_b128 a[76:79], v23 offset:26368                    // 000000005518: DBFE6700 4C000017
	ds_read_b128 a[16:19], v22                                 // 000000005520: DBFE0000 10000016
	ds_read_b128 a[20:23], v22 offset:512                      // 000000005528: DBFE0200 14000016
	ds_read_b128 a[24:27], v22 offset:2176                     // 000000005530: DBFE0880 18000016
	ds_read_b128 a[28:31], v22 offset:2688                     // 000000005538: DBFE0A80 1C000016
	s_waitcnt vmcnt(32) lgkmcnt(0)                             // 000000005540: BF8C8070
	s_barrier                                                  // 000000005544: BF8A0000
	s_cmp_lt_i32 2, s73                                        // 000000005548: BF044982
	s_cbranch_scc1 label_05E4                                  // 00000000554C: BF850010
	v_mov_b32_e32 v184, 0                                      // 000000005550: 7F700280
	v_mov_b32_e32 v185, 0                                      // 000000005554: 7F720280
	v_mov_b32_e32 v186, 0                                      // 000000005558: 7F740280
	v_mov_b32_e32 v187, 0                                      // 00000000555C: 7F760280
	v_mov_b32_e32 v188, 0                                      // 000000005560: 7F780280
	v_mov_b32_e32 v189, 0                                      // 000000005564: 7F7A0280
	v_mov_b32_e32 v190, 0                                      // 000000005568: 7F7C0280
	v_mov_b32_e32 v191, 0                                      // 00000000556C: 7F7E0280
	v_mov_b32_e32 v192, 0                                      // 000000005570: 7F800280
	v_mov_b32_e32 v193, 0                                      // 000000005574: 7F820280
	v_mov_b32_e32 v194, 0                                      // 000000005578: 7F840280
	v_mov_b32_e32 v195, 0                                      // 00000000557C: 7F860280
	v_mov_b32_e32 v196, 0                                      // 000000005580: 7F880280
	v_mov_b32_e32 v197, 0                                      // 000000005584: 7F8A0280
	v_mov_b32_e32 v198, 0                                      // 000000005588: 7F8C0280
	v_mov_b32_e32 v199, 0                                      // 00000000558C: 7F8E0280

0000000000005590 <label_05E4>:
	v_perm_b32 v200, v185, v184, s63                           // 000000005590: D1ED00C8 00FF71B9
	v_perm_b32 v201, v185, v184, s64                           // 000000005598: D1ED00C9 010371B9
	v_perm_b32 v202, v187, v186, s63                           // 0000000055A0: D1ED00CA 00FF75BB
	v_perm_b32 v203, v187, v186, s64                           // 0000000055A8: D1ED00CB 010375BB
	v_perm_b32 v204, v189, v188, s63                           // 0000000055B0: D1ED00CC 00FF79BD
	v_perm_b32 v205, v189, v188, s64                           // 0000000055B8: D1ED00CD 010379BD
	v_perm_b32 v206, v191, v190, s63                           // 0000000055C0: D1ED00CE 00FF7DBF
	v_perm_b32 v207, v191, v190, s64                           // 0000000055C8: D1ED00CF 01037DBF
	v_perm_b32 v208, v193, v192, s63                           // 0000000055D0: D1ED00D0 00FF81C1
	v_perm_b32 v209, v193, v192, s64                           // 0000000055D8: D1ED00D1 010381C1
	v_perm_b32 v210, v195, v194, s63                           // 0000000055E0: D1ED00D2 00FF85C3
	v_perm_b32 v211, v195, v194, s64                           // 0000000055E8: D1ED00D3 010385C3
	v_perm_b32 v212, v197, v196, s63                           // 0000000055F0: D1ED00D4 00FF89C5
	v_perm_b32 v213, v197, v196, s64                           // 0000000055F8: D1ED00D5 010389C5
	v_perm_b32 v214, v199, v198, s63                           // 000000005600: D1ED00D6 00FF8DC7
	v_perm_b32 v215, v199, v198, s64                           // 000000005608: D1ED00D7 01038DC7
	ds_write_b32 v13, v200 offset:17408                        // 000000005610: D81A4400 0000C80D
	ds_write_b32 v13, v201 offset:18464                        // 000000005618: D81A4820 0000C90D
	ds_write_b32 v13, v202 offset:17536                        // 000000005620: D81A4480 0000CA0D
	ds_write_b32 v13, v203 offset:18592                        // 000000005628: D81A48A0 0000CB0D
	ds_write_b32 v13, v204 offset:21760                        // 000000005630: D81A5500 0000CC0D
	ds_write_b32 v13, v205 offset:22816                        // 000000005638: D81A5920 0000CD0D
	ds_write_b32 v13, v206 offset:21888                        // 000000005640: D81A5580 0000CE0D
	ds_write_b32 v13, v207 offset:22944                        // 000000005648: D81A59A0 0000CF0D
	ds_write_b32 v13, v208 offset:26112                        // 000000005650: D81A6600 0000D00D
	ds_write_b32 v13, v209 offset:27168                        // 000000005658: D81A6A20 0000D10D
	ds_write_b32 v13, v210 offset:26240                        // 000000005660: D81A6680 0000D20D
	ds_write_b32 v13, v211 offset:27296                        // 000000005668: D81A6AA0 0000D30D
	ds_write_b32 v13, v212 offset:30464                        // 000000005670: D81A7700 0000D40D
	ds_write_b32 v13, v213 offset:31520                        // 000000005678: D81A7B20 0000D50D
	ds_write_b32 v13, v214 offset:30592                        // 000000005680: D81A7780 0000D60D
	ds_write_b32 v13, v215 offset:31648                        // 000000005688: D81A7BA0 0000D70D
	ds_write_b32 v11, v184                                     // 000000005690: D81A0000 0000B80B
	ds_write_b32 v11, v185 offset:1056                         // 000000005698: D81A0420 0000B90B
	ds_write_b32 v11, v186 offset:128                          // 0000000056A0: D81A0080 0000BA0B
	ds_write_b32 v11, v187 offset:1184                         // 0000000056A8: D81A04A0 0000BB0B
	ds_write_b32 v11, v188 offset:4352                         // 0000000056B0: D81A1100 0000BC0B
	ds_write_b32 v11, v189 offset:5408                         // 0000000056B8: D81A1520 0000BD0B
	ds_write_b32 v11, v190 offset:4480                         // 0000000056C0: D81A1180 0000BE0B
	ds_write_b32 v11, v191 offset:5536                         // 0000000056C8: D81A15A0 0000BF0B
	ds_write_b32 v11, v192 offset:8704                         // 0000000056D0: D81A2200 0000C00B
	ds_write_b32 v11, v193 offset:9760                         // 0000000056D8: D81A2620 0000C10B
	ds_write_b32 v11, v194 offset:8832                         // 0000000056E0: D81A2280 0000C20B
	ds_write_b32 v11, v195 offset:9888                         // 0000000056E8: D81A26A0 0000C30B
	ds_write_b32 v11, v196 offset:13056                        // 0000000056F0: D81A3300 0000C40B
	ds_write_b32 v11, v197 offset:14112                        // 0000000056F8: D81A3720 0000C50B
	ds_write_b32 v11, v198 offset:13184                        // 000000005700: D81A3380 0000C60B
	ds_write_b32 v11, v199 offset:14240                        // 000000005708: D81A37A0 0000C70B
	v_mov_b32_e32 v184, 0                                      // 000000005710: 7F700280
	s_mov_b64 exec, s[88:89]                                   // 000000005714: BEFE0158
	buffer_load_dword v184, v252, s[16:19], 0 idxen            // 000000005718: E0502000 8004B8FC
	s_mov_b64 exec, s[86:87]                                   // 000000005720: BEFE0156
	v_mov_b32_e32 v185, 0                                      // 000000005724: 7F720280
	s_mov_b64 exec, s[88:89]                                   // 000000005728: BEFE0158
	buffer_load_dword v185, v253, s[16:19], 0 idxen            // 00000000572C: E0502000 8004B9FD
	s_mov_b64 exec, s[86:87]                                   // 000000005734: BEFE0156
	v_mov_b32_e32 v186, 0                                      // 000000005738: 7F740280
	s_mov_b64 exec, s[88:89]                                   // 00000000573C: BEFE0158
	buffer_load_dword v186, v254, s[16:19], 0 idxen            // 000000005740: E0502000 8004BAFE
	s_mov_b64 exec, s[86:87]                                   // 000000005748: BEFE0156
	v_mov_b32_e32 v187, 0                                      // 00000000574C: 7F760280
	s_mov_b64 exec, s[88:89]                                   // 000000005750: BEFE0158
	buffer_load_dword v187, v255, s[16:19], 0 idxen            // 000000005754: E0502000 8004BBFF
	s_mov_b64 exec, s[86:87]                                   // 00000000575C: BEFE0156
	s_mul_i32 s60, 4, s7                                       // 000000005760: 923C0784
	s_cmp_lt_i32 2, s73                                        // 000000005764: BF044982
	s_cselect_b32 s60, s60, 0                                  // 000000005768: 853C803C
	v_add_u32_e32 v252, s60, v252                              // 00000000576C: 69F9F83C
	v_add_u32_e32 v253, s60, v253                              // 000000005770: 69FBFA3C
	v_add_u32_e32 v254, s60, v254                              // 000000005774: 69FDFC3C
	v_add_u32_e32 v255, s60, v255                              // 000000005778: 69FFFE3C
	v_mov_b32_e32 v188, 0                                      // 00000000577C: 7F780280
	s_mov_b64 exec, s[88:89]                                   // 000000005780: BEFE0158
	buffer_load_dword v188, v252, s[16:19], 0 idxen            // 000000005784: E0502000 8004BCFC
	s_mov_b64 exec, s[86:87]                                   // 00000000578C: BEFE0156
	v_mov_b32_e32 v189, 0                                      // 000000005790: 7F7A0280
	s_mov_b64 exec, s[88:89]                                   // 000000005794: BEFE0158
	buffer_load_dword v189, v253, s[16:19], 0 idxen            // 000000005798: E0502000 8004BDFD
	s_mov_b64 exec, s[86:87]                                   // 0000000057A0: BEFE0156
	v_mov_b32_e32 v190, 0                                      // 0000000057A4: 7F7C0280
	s_mov_b64 exec, s[88:89]                                   // 0000000057A8: BEFE0158
	buffer_load_dword v190, v254, s[16:19], 0 idxen            // 0000000057AC: E0502000 8004BEFE
	s_mov_b64 exec, s[86:87]                                   // 0000000057B4: BEFE0156
	v_mov_b32_e32 v191, 0                                      // 0000000057B8: 7F7E0280
	s_mov_b64 exec, s[88:89]                                   // 0000000057BC: BEFE0158
	buffer_load_dword v191, v255, s[16:19], 0 idxen            // 0000000057C0: E0502000 8004BFFF
	s_mov_b64 exec, s[86:87]                                   // 0000000057C8: BEFE0156
	s_mul_i32 s60, 4, s7                                       // 0000000057CC: 923C0784
	s_cmp_lt_i32 2, s73                                        // 0000000057D0: BF044982
	s_cselect_b32 s60, s60, 0                                  // 0000000057D4: 853C803C
	v_add_u32_e32 v252, s60, v252                              // 0000000057D8: 69F9F83C
	v_add_u32_e32 v253, s60, v253                              // 0000000057DC: 69FBFA3C
	v_add_u32_e32 v254, s60, v254                              // 0000000057E0: 69FDFC3C
	v_add_u32_e32 v255, s60, v255                              // 0000000057E4: 69FFFE3C
	v_mov_b32_e32 v192, 0                                      // 0000000057E8: 7F800280
	s_mov_b64 exec, s[88:89]                                   // 0000000057EC: BEFE0158
	buffer_load_dword v192, v252, s[16:19], 0 idxen            // 0000000057F0: E0502000 8004C0FC
	s_mov_b64 exec, s[86:87]                                   // 0000000057F8: BEFE0156
	v_mov_b32_e32 v193, 0                                      // 0000000057FC: 7F820280
	s_mov_b64 exec, s[88:89]                                   // 000000005800: BEFE0158
	buffer_load_dword v193, v253, s[16:19], 0 idxen            // 000000005804: E0502000 8004C1FD
	s_mov_b64 exec, s[86:87]                                   // 00000000580C: BEFE0156
	v_mov_b32_e32 v194, 0                                      // 000000005810: 7F840280
	s_mov_b64 exec, s[88:89]                                   // 000000005814: BEFE0158
	buffer_load_dword v194, v254, s[16:19], 0 idxen            // 000000005818: E0502000 8004C2FE
	s_mov_b64 exec, s[86:87]                                   // 000000005820: BEFE0156
	v_mov_b32_e32 v195, 0                                      // 000000005824: 7F860280
	s_mov_b64 exec, s[88:89]                                   // 000000005828: BEFE0158
	buffer_load_dword v195, v255, s[16:19], 0 idxen            // 00000000582C: E0502000 8004C3FF
	s_mov_b64 exec, s[86:87]                                   // 000000005834: BEFE0156
	s_mul_i32 s60, 4, s7                                       // 000000005838: 923C0784
	s_cmp_lt_i32 2, s73                                        // 00000000583C: BF044982
	s_cselect_b32 s60, s60, 0                                  // 000000005840: 853C803C
	v_add_u32_e32 v252, s60, v252                              // 000000005844: 69F9F83C
	v_add_u32_e32 v253, s60, v253                              // 000000005848: 69FBFA3C
	v_add_u32_e32 v254, s60, v254                              // 00000000584C: 69FDFC3C
	v_add_u32_e32 v255, s60, v255                              // 000000005850: 69FFFE3C
	v_mov_b32_e32 v196, 0                                      // 000000005854: 7F880280
	s_mov_b64 exec, s[88:89]                                   // 000000005858: BEFE0158
	buffer_load_dword v196, v252, s[16:19], 0 idxen            // 00000000585C: E0502000 8004C4FC
	s_mov_b64 exec, s[86:87]                                   // 000000005864: BEFE0156
	v_mov_b32_e32 v197, 0                                      // 000000005868: 7F8A0280
	s_mov_b64 exec, s[88:89]                                   // 00000000586C: BEFE0158
	buffer_load_dword v197, v253, s[16:19], 0 idxen            // 000000005870: E0502000 8004C5FD
	s_mov_b64 exec, s[86:87]                                   // 000000005878: BEFE0156
	v_mov_b32_e32 v198, 0                                      // 00000000587C: 7F8C0280
	s_mov_b64 exec, s[88:89]                                   // 000000005880: BEFE0158
	buffer_load_dword v198, v254, s[16:19], 0 idxen            // 000000005884: E0502000 8004C6FE
	s_mov_b64 exec, s[86:87]                                   // 00000000588C: BEFE0156
	v_mov_b32_e32 v199, 0                                      // 000000005890: 7F8E0280
	s_mov_b64 exec, s[88:89]                                   // 000000005894: BEFE0158
	buffer_load_dword v199, v255, s[16:19], 0 idxen            // 000000005898: E0502000 8004C7FF
	s_mov_b64 exec, s[86:87]                                   // 0000000058A0: BEFE0156
	s_mul_i32 s60, 4, s7                                       // 0000000058A4: 923C0784
	s_cmp_lt_i32 3, s73                                        // 0000000058A8: BF044983
	s_cselect_b32 s60, s60, 0                                  // 0000000058AC: 853C803C
	v_add_u32_e32 v252, s60, v252                              // 0000000058B0: 69F9F83C
	v_add_u32_e32 v253, s60, v253                              // 0000000058B4: 69FBFA3C
	v_add_u32_e32 v254, s60, v254                              // 0000000058B8: 69FDFC3C
	v_add_u32_e32 v255, s60, v255                              // 0000000058BC: 69FFFE3C
	s_waitcnt lgkmcnt(0)                                       // 0000000058C0: BF8CC07F
	s_barrier                                                  // 0000000058C4: BF8A0000
	ds_read_b128 a[80:83], v23 offset:17408                    // 0000000058C8: DBFE4400 50000017
	ds_read_b128 a[84:87], v23 offset:17664                    // 0000000058D0: DBFE4500 54000017
	ds_read_b128 a[88:91], v23 offset:26112                    // 0000000058D8: DBFE6600 58000017
	ds_read_b128 a[92:95], v23 offset:26368                    // 0000000058E0: DBFE6700 5C000017
	ds_read_b128 a[32:35], v22                                 // 0000000058E8: DBFE0000 20000016
	ds_read_b128 a[36:39], v22 offset:512                      // 0000000058F0: DBFE0200 24000016
	ds_read_b128 a[40:43], v22 offset:2176                     // 0000000058F8: DBFE0880 28000016
	ds_read_b128 a[44:47], v22 offset:2688                     // 000000005900: DBFE0A80 2C000016
	s_waitcnt vmcnt(32) lgkmcnt(0)                             // 000000005908: BF8C8070
	s_barrier                                                  // 00000000590C: BF8A0000
	s_cmp_lt_i32 0, s73                                        // 000000005910: BF044980
	s_cbranch_scc1 label_06D6                                  // 000000005914: BF850010
	v_mov_b32_e32 v152, 0                                      // 000000005918: 7F300280
	v_mov_b32_e32 v153, 0                                      // 00000000591C: 7F320280
	v_mov_b32_e32 v154, 0                                      // 000000005920: 7F340280
	v_mov_b32_e32 v155, 0                                      // 000000005924: 7F360280
	v_mov_b32_e32 v156, 0                                      // 000000005928: 7F380280
	v_mov_b32_e32 v157, 0                                      // 00000000592C: 7F3A0280
	v_mov_b32_e32 v158, 0                                      // 000000005930: 7F3C0280
	v_mov_b32_e32 v159, 0                                      // 000000005934: 7F3E0280
	v_mov_b32_e32 v160, 0                                      // 000000005938: 7F400280
	v_mov_b32_e32 v161, 0                                      // 00000000593C: 7F420280
	v_mov_b32_e32 v162, 0                                      // 000000005940: 7F440280
	v_mov_b32_e32 v163, 0                                      // 000000005944: 7F460280
	v_mov_b32_e32 v164, 0                                      // 000000005948: 7F480280
	v_mov_b32_e32 v165, 0                                      // 00000000594C: 7F4A0280
	v_mov_b32_e32 v166, 0                                      // 000000005950: 7F4C0280
	v_mov_b32_e32 v167, 0                                      // 000000005954: 7F4E0280

0000000000005958 <label_06D6>:
	ds_write_b32 v11, v152                                     // 000000005958: D81A0000 0000980B
	ds_write_b32 v11, v153 offset:1056                         // 000000005960: D81A0420 0000990B
	ds_write_b32 v11, v154 offset:128                          // 000000005968: D81A0080 00009A0B
	ds_write_b32 v11, v155 offset:1184                         // 000000005970: D81A04A0 00009B0B
	ds_write_b32 v11, v156 offset:4352                         // 000000005978: D81A1100 00009C0B
	ds_write_b32 v11, v157 offset:5408                         // 000000005980: D81A1520 00009D0B
	ds_write_b32 v11, v158 offset:4480                         // 000000005988: D81A1180 00009E0B
	ds_write_b32 v11, v159 offset:5536                         // 000000005990: D81A15A0 00009F0B
	ds_write_b32 v11, v160 offset:8704                         // 000000005998: D81A2200 0000A00B
	ds_write_b32 v11, v161 offset:9760                         // 0000000059A0: D81A2620 0000A10B
	ds_write_b32 v11, v162 offset:8832                         // 0000000059A8: D81A2280 0000A20B
	ds_write_b32 v11, v163 offset:9888                         // 0000000059B0: D81A26A0 0000A30B
	ds_write_b32 v11, v164 offset:13056                        // 0000000059B8: D81A3300 0000A40B
	ds_write_b32 v11, v165 offset:14112                        // 0000000059C0: D81A3720 0000A50B
	ds_write_b32 v11, v166 offset:13184                        // 0000000059C8: D81A3380 0000A60B
	ds_write_b32 v11, v167 offset:14240                        // 0000000059D0: D81A37A0 0000A70B
	s_mov_b32 s71, s5                                          // 0000000059D8: BEC70005
	v_lshrrev_b32_e32 v28, 4, v0                               // 0000000059DC: 20380084
	v_and_b32_e32 v29, 1, v28                                  // 0000000059E0: 263A3881
	v_lshlrev_b32_e32 v29, 1, v29                              // 0000000059E4: 243A3A81
	v_mul_i32_i24_e32 v29, s71, v29                            // 0000000059E8: 0C3A3A47
	v_and_b32_e32 v30, 2, v28                                  // 0000000059EC: 263C3882
	v_lshlrev_b32_e32 v30, 5, v30                              // 0000000059F0: 243C3C85
	v_add_u32_e32 v29, v30, v29                                // 0000000059F4: 683A3B1E
	v_and_b32_e32 v28, 15, v0                                  // 0000000059F8: 2638008F
	v_lshlrev_b32_e32 v28, 2, v28                              // 0000000059FC: 24383882
	v_add_u32_e32 v1, v28, v29                                 // 000000005A00: 68023B1C
	s_and_b32 s60, 1, s46                                      // 000000005A04: 863C2E81
	s_mul_i32 s60, s60, s71                                    // 000000005A08: 923C473C
	s_mul_i32 s60, s60, 8                                      // 000000005A0C: 923C883C
	s_lshr_b32 s61, s46, 1                                     // 000000005A10: 8F3D812E
	s_mul_i32 s61, s61, 0x80                                   // 000000005A14: 923DFF3D 00000080
	s_add_u32 s60, s60, s61                                    // 000000005A1C: 803C3D3C
	v_add_u32_e32 v1, s60, v1                                  // 000000005A20: 6802023C
	v_add_u32_e32 v2, s71, v1                                  // 000000005A24: 68040247
	s_mul_i32 s60, 4, s71                                      // 000000005A28: 923C4784
	v_add_u32_e32 v3, s60, v1                                  // 000000005A2C: 6806023C
	v_add_u32_e32 v4, s60, v2                                  // 000000005A30: 6808043C
	s_mov_b32 s71, s51                                         // 000000005A34: BEC70033
	v_lshrrev_b32_e32 v28, 4, v0                               // 000000005A38: 20380084
	v_and_b32_e32 v29, 1, v28                                  // 000000005A3C: 263A3881
	v_lshlrev_b32_e32 v29, 1, v29                              // 000000005A40: 243A3A81
	v_mul_i32_i24_e32 v29, s71, v29                            // 000000005A44: 0C3A3A47
	v_and_b32_e32 v30, 2, v28                                  // 000000005A48: 263C3882
	v_lshlrev_b32_e32 v30, 5, v30                              // 000000005A4C: 243C3C85
	v_add_u32_e32 v29, v30, v29                                // 000000005A50: 683A3B1E
	v_and_b32_e32 v28, 15, v0                                  // 000000005A54: 2638008F
	v_lshlrev_b32_e32 v28, 2, v28                              // 000000005A58: 24383882
	v_add_u32_e32 v252, v28, v29                               // 000000005A5C: 69F83B1C
	s_and_b32 s60, 1, s46                                      // 000000005A60: 863C2E81
	s_mul_i32 s60, s60, s71                                    // 000000005A64: 923C473C
	s_mul_i32 s60, s60, 8                                      // 000000005A68: 923C883C
	s_lshr_b32 s61, s46, 1                                     // 000000005A6C: 8F3D812E
	s_mul_i32 s61, s61, 0x80                                   // 000000005A70: 923DFF3D 00000080
	s_add_u32 s60, s60, s61                                    // 000000005A78: 803C3D3C
	v_add_u32_e32 v252, s60, v252                              // 000000005A7C: 69F9F83C
	v_add_u32_e32 v253, s71, v252                              // 000000005A80: 69FBF847
	s_mul_i32 s60, 4, s71                                      // 000000005A84: 923C4784
	v_add_u32_e32 v254, s60, v252                              // 000000005A88: 69FDF83C
	v_add_u32_e32 v255, s60, v253                              // 000000005A8C: 69FFFA3C
	v_lshrrev_b32_e32 v1, 2, v1                                // 000000005A90: 20020282
	v_lshrrev_b32_e32 v2, 2, v2                                // 000000005A94: 20040482
	v_lshrrev_b32_e32 v3, 2, v3                                // 000000005A98: 20060682
	v_lshrrev_b32_e32 v4, 2, v4                                // 000000005A9C: 20080882
	v_lshrrev_b32_e32 v252, 2, v252                            // 000000005AA0: 21F9F882
	v_lshrrev_b32_e32 v253, 2, v253                            // 000000005AA4: 21FBFA82
	v_lshrrev_b32_e32 v254, 2, v254                            // 000000005AA8: 21FDFC82
	v_lshrrev_b32_e32 v255, 2, v255                            // 000000005AAC: 21FFFE82
	v_mov_b32_e32 v32, 0                                       // 000000005AB0: 7E400280
	s_mov_b64 exec, s[88:89]                                   // 000000005AB4: BEFE0158
	buffer_load_dword v32, v1, s[8:11], 0 idxen                // 000000005AB8: E0502000 80022001
	s_mov_b64 exec, s[86:87]                                   // 000000005AC0: BEFE0156
	v_mov_b32_e32 v33, 0                                       // 000000005AC4: 7E420280
	s_mov_b64 exec, s[88:89]                                   // 000000005AC8: BEFE0158
	buffer_load_dword v33, v2, s[8:11], 0 idxen                // 000000005ACC: E0502000 80022102
	s_mov_b64 exec, s[86:87]                                   // 000000005AD4: BEFE0156
	v_mov_b32_e32 v34, 0                                       // 000000005AD8: 7E440280
	s_mov_b64 exec, s[88:89]                                   // 000000005ADC: BEFE0158
	buffer_load_dword v34, v3, s[8:11], 0 idxen                // 000000005AE0: E0502000 80022203
	s_mov_b64 exec, s[86:87]                                   // 000000005AE8: BEFE0156
	v_mov_b32_e32 v35, 0                                       // 000000005AEC: 7E460280
	s_mov_b64 exec, s[88:89]                                   // 000000005AF0: BEFE0158
	buffer_load_dword v35, v4, s[8:11], 0 idxen                // 000000005AF4: E0502000 80022304
	s_mov_b64 exec, s[86:87]                                   // 000000005AFC: BEFE0156
	v_mov_b32_e32 v40, 0                                       // 000000005B00: 7E500280
	s_mov_b64 exec, s[88:89]                                   // 000000005B04: BEFE0158
	buffer_load_dword v40, v252, s[20:23], 0 idxen             // 000000005B08: E0502000 800528FC
	s_mov_b64 exec, s[86:87]                                   // 000000005B10: BEFE0156
	v_mov_b32_e32 v41, 0                                       // 000000005B14: 7E520280
	s_mov_b64 exec, s[88:89]                                   // 000000005B18: BEFE0158
	buffer_load_dword v41, v253, s[20:23], 0 idxen             // 000000005B1C: E0502000 800529FD
	s_mov_b64 exec, s[86:87]                                   // 000000005B24: BEFE0156
	v_mov_b32_e32 v42, 0                                       // 000000005B28: 7E540280
	s_mov_b64 exec, s[88:89]                                   // 000000005B2C: BEFE0158
	buffer_load_dword v42, v254, s[20:23], 0 idxen             // 000000005B30: E0502000 80052AFE
	s_mov_b64 exec, s[86:87]                                   // 000000005B38: BEFE0156
	v_mov_b32_e32 v43, 0                                       // 000000005B3C: 7E560280
	s_mov_b64 exec, s[88:89]                                   // 000000005B40: BEFE0158
	buffer_load_dword v43, v255, s[20:23], 0 idxen             // 000000005B44: E0502000 80052BFF
	s_mov_b64 exec, s[86:87]                                   // 000000005B4C: BEFE0156
	s_waitcnt lgkmcnt(0)                                       // 000000005B50: BF8CC07F
	s_barrier                                                  // 000000005B54: BF8A0000
	ds_read_b128 a[96:99], v22                                 // 000000005B58: DBFE0000 60000016
	ds_read_b128 a[100:103], v22 offset:512                    // 000000005B60: DBFE0200 64000016
	ds_read_b128 a[104:107], v22 offset:2176                   // 000000005B68: DBFE0880 68000016
	ds_read_b128 a[108:111], v22 offset:2688                   // 000000005B70: DBFE0A80 6C000016
	v_add_u32_e32 v1, s68, v1                                  // 000000005B78: 68020244
	v_add_u32_e32 v2, s68, v2                                  // 000000005B7C: 68040444
	v_add_u32_e32 v3, s68, v3                                  // 000000005B80: 68060644
	v_add_u32_e32 v4, s68, v4                                  // 000000005B84: 68080844
	v_add_u32_e32 v252, s97, v252                              // 000000005B88: 69F9F861
	v_add_u32_e32 v253, s97, v253                              // 000000005B8C: 69FBFA61
	v_add_u32_e32 v254, s97, v254                              // 000000005B90: 69FDFC61
	v_add_u32_e32 v255, s97, v255                              // 000000005B94: 69FFFE61
	s_waitcnt vmcnt(24) lgkmcnt(0)                             // 000000005B98: BF8C4078
	s_barrier                                                  // 000000005B9C: BF8A0000
	s_cmp_lt_i32 1, s73                                        // 000000005BA0: BF044981
	s_cbranch_scc1 label_077A                                  // 000000005BA4: BF850010
	v_mov_b32_e32 v168, 0                                      // 000000005BA8: 7F500280
	v_mov_b32_e32 v169, 0                                      // 000000005BAC: 7F520280
	v_mov_b32_e32 v170, 0                                      // 000000005BB0: 7F540280
	v_mov_b32_e32 v171, 0                                      // 000000005BB4: 7F560280
	v_mov_b32_e32 v172, 0                                      // 000000005BB8: 7F580280
	v_mov_b32_e32 v173, 0                                      // 000000005BBC: 7F5A0280
	v_mov_b32_e32 v174, 0                                      // 000000005BC0: 7F5C0280
	v_mov_b32_e32 v175, 0                                      // 000000005BC4: 7F5E0280
	v_mov_b32_e32 v176, 0                                      // 000000005BC8: 7F600280
	v_mov_b32_e32 v177, 0                                      // 000000005BCC: 7F620280
	v_mov_b32_e32 v178, 0                                      // 000000005BD0: 7F640280
	v_mov_b32_e32 v179, 0                                      // 000000005BD4: 7F660280
	v_mov_b32_e32 v180, 0                                      // 000000005BD8: 7F680280
	v_mov_b32_e32 v181, 0                                      // 000000005BDC: 7F6A0280
	v_mov_b32_e32 v182, 0                                      // 000000005BE0: 7F6C0280
	v_mov_b32_e32 v183, 0                                      // 000000005BE4: 7F6E0280

0000000000005be8 <label_077A>:
	ds_write_b32 v11, v168                                     // 000000005BE8: D81A0000 0000A80B
	ds_write_b32 v11, v169 offset:1056                         // 000000005BF0: D81A0420 0000A90B
	ds_write_b32 v11, v170 offset:128                          // 000000005BF8: D81A0080 0000AA0B
	ds_write_b32 v11, v171 offset:1184                         // 000000005C00: D81A04A0 0000AB0B
	ds_write_b32 v11, v172 offset:4352                         // 000000005C08: D81A1100 0000AC0B
	ds_write_b32 v11, v173 offset:5408                         // 000000005C10: D81A1520 0000AD0B
	ds_write_b32 v11, v174 offset:4480                         // 000000005C18: D81A1180 0000AE0B
	ds_write_b32 v11, v175 offset:5536                         // 000000005C20: D81A15A0 0000AF0B
	ds_write_b32 v11, v176 offset:8704                         // 000000005C28: D81A2200 0000B00B
	ds_write_b32 v11, v177 offset:9760                         // 000000005C30: D81A2620 0000B10B
	ds_write_b32 v11, v178 offset:8832                         // 000000005C38: D81A2280 0000B20B
	ds_write_b32 v11, v179 offset:9888                         // 000000005C40: D81A26A0 0000B30B
	ds_write_b32 v11, v180 offset:13056                        // 000000005C48: D81A3300 0000B40B
	ds_write_b32 v11, v181 offset:14112                        // 000000005C50: D81A3720 0000B50B
	ds_write_b32 v11, v182 offset:13184                        // 000000005C58: D81A3380 0000B60B
	ds_write_b32 v11, v183 offset:14240                        // 000000005C60: D81A37A0 0000B70B
	v_mov_b32_e32 v36, 0                                       // 000000005C68: 7E480280
	s_mov_b64 exec, s[88:89]                                   // 000000005C6C: BEFE0158
	buffer_load_dword v36, v1, s[8:11], 0 idxen                // 000000005C70: E0502000 80022401
	s_mov_b64 exec, s[86:87]                                   // 000000005C78: BEFE0156
	v_mov_b32_e32 v37, 0                                       // 000000005C7C: 7E4A0280
	s_mov_b64 exec, s[88:89]                                   // 000000005C80: BEFE0158
	buffer_load_dword v37, v2, s[8:11], 0 idxen                // 000000005C84: E0502000 80022502
	s_mov_b64 exec, s[86:87]                                   // 000000005C8C: BEFE0156
	v_mov_b32_e32 v38, 0                                       // 000000005C90: 7E4C0280
	s_mov_b64 exec, s[88:89]                                   // 000000005C94: BEFE0158
	buffer_load_dword v38, v3, s[8:11], 0 idxen                // 000000005C98: E0502000 80022603
	s_mov_b64 exec, s[86:87]                                   // 000000005CA0: BEFE0156
	v_mov_b32_e32 v39, 0                                       // 000000005CA4: 7E4E0280
	s_mov_b64 exec, s[88:89]                                   // 000000005CA8: BEFE0158
	buffer_load_dword v39, v4, s[8:11], 0 idxen                // 000000005CAC: E0502000 80022704
	s_mov_b64 exec, s[86:87]                                   // 000000005CB4: BEFE0156
	v_mov_b32_e32 v44, 0                                       // 000000005CB8: 7E580280
	s_mov_b64 exec, s[88:89]                                   // 000000005CBC: BEFE0158
	buffer_load_dword v44, v252, s[20:23], 0 idxen             // 000000005CC0: E0502000 80052CFC
	s_mov_b64 exec, s[86:87]                                   // 000000005CC8: BEFE0156
	v_mov_b32_e32 v45, 0                                       // 000000005CCC: 7E5A0280
	s_mov_b64 exec, s[88:89]                                   // 000000005CD0: BEFE0158
	buffer_load_dword v45, v253, s[20:23], 0 idxen             // 000000005CD4: E0502000 80052DFD
	s_mov_b64 exec, s[86:87]                                   // 000000005CDC: BEFE0156
	v_mov_b32_e32 v46, 0                                       // 000000005CE0: 7E5C0280
	s_mov_b64 exec, s[88:89]                                   // 000000005CE4: BEFE0158
	buffer_load_dword v46, v254, s[20:23], 0 idxen             // 000000005CE8: E0502000 80052EFE
	s_mov_b64 exec, s[86:87]                                   // 000000005CF0: BEFE0156
	v_mov_b32_e32 v47, 0                                       // 000000005CF4: 7E5E0280
	s_mov_b64 exec, s[88:89]                                   // 000000005CF8: BEFE0158
	buffer_load_dword v47, v255, s[20:23], 0 idxen             // 000000005CFC: E0502000 80052FFF
	s_mov_b64 exec, s[86:87]                                   // 000000005D04: BEFE0156
	s_waitcnt lgkmcnt(0)                                       // 000000005D08: BF8CC07F
	s_barrier                                                  // 000000005D0C: BF8A0000
	ds_read_b128 a[112:115], v22                               // 000000005D10: DBFE0000 70000016
	ds_read_b128 a[116:119], v22 offset:512                    // 000000005D18: DBFE0200 74000016
	ds_read_b128 a[120:123], v22 offset:2176                   // 000000005D20: DBFE0880 78000016
	ds_read_b128 a[124:127], v22 offset:2688                   // 000000005D28: DBFE0A80 7C000016
	v_add_u32_e32 v1, s68, v1                                  // 000000005D30: 68020244
	v_add_u32_e32 v2, s68, v2                                  // 000000005D34: 68040444
	v_add_u32_e32 v3, s68, v3                                  // 000000005D38: 68060644
	v_add_u32_e32 v4, s68, v4                                  // 000000005D3C: 68080844
	v_add_u32_e32 v252, s97, v252                              // 000000005D40: 69F9F861
	v_add_u32_e32 v253, s97, v253                              // 000000005D44: 69FBFA61
	v_add_u32_e32 v254, s97, v254                              // 000000005D48: 69FDFC61
	v_add_u32_e32 v255, s97, v255                              // 000000005D4C: 69FFFE61
	s_waitcnt vmcnt(16) lgkmcnt(0)                             // 000000005D50: BF8C4070
	s_barrier                                                  // 000000005D54: BF8A0000
	s_cmp_lt_i32 2, s73                                        // 000000005D58: BF044982
	s_cbranch_scc1 label_07E8                                  // 000000005D5C: BF850010
	v_mov_b32_e32 v184, 0                                      // 000000005D60: 7F700280
	v_mov_b32_e32 v185, 0                                      // 000000005D64: 7F720280
	v_mov_b32_e32 v186, 0                                      // 000000005D68: 7F740280
	v_mov_b32_e32 v187, 0                                      // 000000005D6C: 7F760280
	v_mov_b32_e32 v188, 0                                      // 000000005D70: 7F780280
	v_mov_b32_e32 v189, 0                                      // 000000005D74: 7F7A0280
	v_mov_b32_e32 v190, 0                                      // 000000005D78: 7F7C0280
	v_mov_b32_e32 v191, 0                                      // 000000005D7C: 7F7E0280
	v_mov_b32_e32 v192, 0                                      // 000000005D80: 7F800280
	v_mov_b32_e32 v193, 0                                      // 000000005D84: 7F820280
	v_mov_b32_e32 v194, 0                                      // 000000005D88: 7F840280
	v_mov_b32_e32 v195, 0                                      // 000000005D8C: 7F860280
	v_mov_b32_e32 v196, 0                                      // 000000005D90: 7F880280
	v_mov_b32_e32 v197, 0                                      // 000000005D94: 7F8A0280
	v_mov_b32_e32 v198, 0                                      // 000000005D98: 7F8C0280
	v_mov_b32_e32 v199, 0                                      // 000000005D9C: 7F8E0280

0000000000005da0 <label_07E8>:
	ds_write_b32 v11, v184                                     // 000000005DA0: D81A0000 0000B80B
	ds_write_b32 v11, v185 offset:1056                         // 000000005DA8: D81A0420 0000B90B
	ds_write_b32 v11, v186 offset:128                          // 000000005DB0: D81A0080 0000BA0B
	ds_write_b32 v11, v187 offset:1184                         // 000000005DB8: D81A04A0 0000BB0B
	ds_write_b32 v11, v188 offset:4352                         // 000000005DC0: D81A1100 0000BC0B
	ds_write_b32 v11, v189 offset:5408                         // 000000005DC8: D81A1520 0000BD0B
	ds_write_b32 v11, v190 offset:4480                         // 000000005DD0: D81A1180 0000BE0B
	ds_write_b32 v11, v191 offset:5536                         // 000000005DD8: D81A15A0 0000BF0B
	ds_write_b32 v11, v192 offset:8704                         // 000000005DE0: D81A2200 0000C00B
	ds_write_b32 v11, v193 offset:9760                         // 000000005DE8: D81A2620 0000C10B
	ds_write_b32 v11, v194 offset:8832                         // 000000005DF0: D81A2280 0000C20B
	ds_write_b32 v11, v195 offset:9888                         // 000000005DF8: D81A26A0 0000C30B
	ds_write_b32 v11, v196 offset:13056                        // 000000005E00: D81A3300 0000C40B
	ds_write_b32 v11, v197 offset:14112                        // 000000005E08: D81A3720 0000C50B
	ds_write_b32 v11, v198 offset:13184                        // 000000005E10: D81A3380 0000C60B
	ds_write_b32 v11, v199 offset:14240                        // 000000005E18: D81A37A0 0000C70B
	s_waitcnt lgkmcnt(0)                                       // 000000005E20: BF8CC07F
	s_barrier                                                  // 000000005E24: BF8A0000
	ds_read_b128 a[128:131], v22                               // 000000005E28: DBFE0000 80000016
	ds_read_b128 a[132:135], v22 offset:512                    // 000000005E30: DBFE0200 84000016
	ds_read_b128 a[136:139], v22 offset:2176                   // 000000005E38: DBFE0880 88000016
	ds_read_b128 a[140:143], v22 offset:2688                   // 000000005E40: DBFE0A80 8C000016
	s_waitcnt vmcnt(8) lgkmcnt(0)                              // 000000005E48: BF8C0078
	s_barrier                                                  // 000000005E4C: BF8A0000
	buffer_load_dword v9, s[24:27], 0 idxen lds                // 000000005E50: E0512000 80060009
	s_mov_b32 m0, s77                                          // 000000005E58: BEFC004D
	v_add_u32_e32 v9, s69, v9                                  // 000000005E5C: 68121245
	v_perm_b32 v84, v33, v32, s63                              // 000000005E60: D1ED0054 00FE4121
	v_perm_b32 v85, v33, v32, s64                              // 000000005E68: D1ED0055 01024121
	v_perm_b32 v86, v35, v34, s63                              // 000000005E70: D1ED0056 00FE4523
	v_perm_b32 v87, v35, v34, s64                              // 000000005E78: D1ED0057 01024523
	ds_write_b32 v13, v84 offset:4352                          // 000000005E80: D81A1100 0000540D
	ds_write_b32 v13, v85 offset:5408                          // 000000005E88: D81A1520 0000550D
	ds_write_b32 v13, v86 offset:4480                          // 000000005E90: D81A1180 0000560D
	ds_write_b32 v13, v87 offset:5536                          // 000000005E98: D81A15A0 0000570D
	ds_write_b32 v11, v32                                      // 000000005EA0: D81A0000 0000200B
	ds_write_b32 v11, v33 offset:1056                          // 000000005EA8: D81A0420 0000210B
	ds_write_b32 v11, v34 offset:128                           // 000000005EB0: D81A0080 0000220B
	ds_write_b32 v11, v35 offset:1184                          // 000000005EB8: D81A04A0 0000230B
	buffer_load_dword v9, s[24:27], 0 idxen lds                // 000000005EC0: E0512000 80060009
	s_mov_b32 m0, s76                                          // 000000005EC8: BEFC004C
	v_add_u32_e32 v9, s69, v9                                  // 000000005ECC: 68121245
	v_perm_b32 v88, v41, v40, s63                              // 000000005ED0: D1ED0058 00FE5129
	v_perm_b32 v89, v41, v40, s64                              // 000000005ED8: D1ED0059 01025129
	v_perm_b32 v90, v43, v42, s63                              // 000000005EE0: D1ED005A 00FE552B
	v_perm_b32 v91, v43, v42, s64                              // 000000005EE8: D1ED005B 0102552B
	ds_write_b32 v13, v88 offset:13056                         // 000000005EF0: D81A3300 0000580D
	ds_write_b32 v13, v89 offset:14112                         // 000000005EF8: D81A3720 0000590D
	ds_write_b32 v13, v90 offset:13184                         // 000000005F00: D81A3380 00005A0D
	ds_write_b32 v13, v91 offset:14240                         // 000000005F08: D81A37A0 00005B0D
	ds_write_b32 v11, v40 offset:8704                          // 000000005F10: D81A2200 0000280B
	ds_write_b32 v11, v41 offset:9760                          // 000000005F18: D81A2620 0000290B
	ds_write_b32 v11, v42 offset:8832                          // 000000005F20: D81A2280 00002A0B
	ds_write_b32 v11, v43 offset:9888                          // 000000005F28: D81A26A0 00002B0B
	s_waitcnt vmcnt(1) lgkmcnt(0)                              // 000000005F30: BF8C0071
	s_barrier                                                  // 000000005F34: BF8A0000
	ds_read_b128 a[144:147], v10                               // 000000005F38: DBFE0000 9000000A
	ds_read_b128 a[148:151], v10 offset:512                    // 000000005F40: DBFE0200 9400000A
	ds_read_b128 a[152:155], v10 offset:2176                   // 000000005F48: DBFE0880 9800000A
	ds_read_b128 a[156:159], v10 offset:2688                   // 000000005F50: DBFE0A80 9C00000A
	ds_read_b128 v[92:95], v10 offset:8704                     // 000000005F58: D9FE2200 5C00000A
	ds_read_b128 v[96:99], v10 offset:9216                     // 000000005F60: D9FE2400 6000000A
	ds_read_b128 v[100:103], v10 offset:10880                  // 000000005F68: D9FE2A80 6400000A
	ds_read_b128 v[104:107], v10 offset:11392                  // 000000005F70: D9FE2C80 6800000A
	ds_read_b32 v124, v21 offset:50688                         // 000000005F78: D86CC600 7C000015
	ds_read_b32 v150, v21 offset:50944                         // 000000005F80: D86CC700 96000015
	v_accvgpr_write_b32 a160, 0                                // 000000005F88: D3D940A0 18000080
	v_mov_b32_e32 v152, 0                                      // 000000005F90: 7F300280
	v_accvgpr_write_b32 a161, 0                                // 000000005F94: D3D940A1 18000080
	v_mov_b32_e32 v153, 0                                      // 000000005F9C: 7F320280
	v_accvgpr_write_b32 a162, 0                                // 000000005FA0: D3D940A2 18000080
	v_mov_b32_e32 v154, 0                                      // 000000005FA8: 7F340280
	v_accvgpr_write_b32 a163, 0                                // 000000005FAC: D3D940A3 18000080
	v_mov_b32_e32 v155, 0                                      // 000000005FB4: 7F360280
	v_accvgpr_write_b32 a164, 0                                // 000000005FB8: D3D940A4 18000080
	v_mov_b32_e32 v156, 0                                      // 000000005FC0: 7F380280
	v_accvgpr_write_b32 a165, 0                                // 000000005FC4: D3D940A5 18000080
	v_mov_b32_e32 v157, 0                                      // 000000005FCC: 7F3A0280
	v_accvgpr_write_b32 a166, 0                                // 000000005FD0: D3D940A6 18000080
	v_mov_b32_e32 v158, 0                                      // 000000005FD8: 7F3C0280
	v_accvgpr_write_b32 a167, 0                                // 000000005FDC: D3D940A7 18000080
	v_mov_b32_e32 v159, 0                                      // 000000005FE4: 7F3E0280
	v_accvgpr_write_b32 a168, 0                                // 000000005FE8: D3D940A8 18000080
	v_mov_b32_e32 v160, 0                                      // 000000005FF0: 7F400280
	v_accvgpr_write_b32 a169, 0                                // 000000005FF4: D3D940A9 18000080
	v_mov_b32_e32 v161, 0                                      // 000000005FFC: 7F420280
	v_accvgpr_write_b32 a170, 0                                // 000000006000: D3D940AA 18000080
	v_mov_b32_e32 v162, 0                                      // 000000006008: 7F440280
	v_accvgpr_write_b32 a171, 0                                // 00000000600C: D3D940AB 18000080
	v_mov_b32_e32 v163, 0                                      // 000000006014: 7F460280
	v_accvgpr_write_b32 a172, 0                                // 000000006018: D3D940AC 18000080
	v_mov_b32_e32 v164, 0                                      // 000000006020: 7F480280
	v_accvgpr_write_b32 a173, 0                                // 000000006024: D3D940AD 18000080
	v_mov_b32_e32 v165, 0                                      // 00000000602C: 7F4A0280
	v_accvgpr_write_b32 a174, 0                                // 000000006030: D3D940AE 18000080
	v_mov_b32_e32 v166, 0                                      // 000000006038: 7F4C0280
	v_accvgpr_write_b32 a175, 0                                // 00000000603C: D3D940AF 18000080
	v_mov_b32_e32 v167, 0                                      // 000000006044: 7F4E0280
	v_accvgpr_write_b32 a176, 0                                // 000000006048: D3D940B0 18000080
	v_mov_b32_e32 v168, 0                                      // 000000006050: 7F500280
	v_accvgpr_write_b32 a177, 0                                // 000000006054: D3D940B1 18000080
	v_mov_b32_e32 v169, 0                                      // 00000000605C: 7F520280
	v_accvgpr_write_b32 a178, 0                                // 000000006060: D3D940B2 18000080
	v_mov_b32_e32 v170, 0                                      // 000000006068: 7F540280
	v_accvgpr_write_b32 a179, 0                                // 00000000606C: D3D940B3 18000080
	v_mov_b32_e32 v171, 0                                      // 000000006074: 7F560280
	v_accvgpr_write_b32 a180, 0                                // 000000006078: D3D940B4 18000080
	v_mov_b32_e32 v172, 0                                      // 000000006080: 7F580280
	v_accvgpr_write_b32 a181, 0                                // 000000006084: D3D940B5 18000080
	v_mov_b32_e32 v173, 0                                      // 00000000608C: 7F5A0280
	v_accvgpr_write_b32 a182, 0                                // 000000006090: D3D940B6 18000080
	v_mov_b32_e32 v174, 0                                      // 000000006098: 7F5C0280
	v_accvgpr_write_b32 a183, 0                                // 00000000609C: D3D940B7 18000080
	v_mov_b32_e32 v175, 0                                      // 0000000060A4: 7F5E0280
	v_accvgpr_write_b32 a184, 0                                // 0000000060A8: D3D940B8 18000080
	v_mov_b32_e32 v176, 0                                      // 0000000060B0: 7F600280
	v_accvgpr_write_b32 a185, 0                                // 0000000060B4: D3D940B9 18000080
	v_mov_b32_e32 v177, 0                                      // 0000000060BC: 7F620280
	v_accvgpr_write_b32 a186, 0                                // 0000000060C0: D3D940BA 18000080
	v_mov_b32_e32 v178, 0                                      // 0000000060C8: 7F640280
	v_accvgpr_write_b32 a187, 0                                // 0000000060CC: D3D940BB 18000080
	v_mov_b32_e32 v179, 0                                      // 0000000060D4: 7F660280
	v_accvgpr_write_b32 a188, 0                                // 0000000060D8: D3D940BC 18000080
	v_mov_b32_e32 v180, 0                                      // 0000000060E0: 7F680280
	v_accvgpr_write_b32 a189, 0                                // 0000000060E4: D3D940BD 18000080
	v_mov_b32_e32 v181, 0                                      // 0000000060EC: 7F6A0280
	v_accvgpr_write_b32 a190, 0                                // 0000000060F0: D3D940BE 18000080
	v_mov_b32_e32 v182, 0                                      // 0000000060F8: 7F6C0280
	v_accvgpr_write_b32 a191, 0                                // 0000000060FC: D3D940BF 18000080
	v_mov_b32_e32 v183, 0                                      // 000000006104: 7F6E0280
	v_accvgpr_write_b32 a192, 0                                // 000000006108: D3D940C0 18000080
	v_mov_b32_e32 v184, 0                                      // 000000006110: 7F700280
	v_accvgpr_write_b32 a193, 0                                // 000000006114: D3D940C1 18000080
	v_mov_b32_e32 v185, 0                                      // 00000000611C: 7F720280
	v_accvgpr_write_b32 a194, 0                                // 000000006120: D3D940C2 18000080
	v_mov_b32_e32 v186, 0                                      // 000000006128: 7F740280
	v_accvgpr_write_b32 a195, 0                                // 00000000612C: D3D940C3 18000080
	v_mov_b32_e32 v187, 0                                      // 000000006134: 7F760280
	v_accvgpr_write_b32 a196, 0                                // 000000006138: D3D940C4 18000080
	v_mov_b32_e32 v188, 0                                      // 000000006140: 7F780280
	v_accvgpr_write_b32 a197, 0                                // 000000006144: D3D940C5 18000080
	v_mov_b32_e32 v189, 0                                      // 00000000614C: 7F7A0280
	v_accvgpr_write_b32 a198, 0                                // 000000006150: D3D940C6 18000080
	v_mov_b32_e32 v190, 0                                      // 000000006158: 7F7C0280
	v_accvgpr_write_b32 a199, 0                                // 00000000615C: D3D940C7 18000080
	v_mov_b32_e32 v191, 0                                      // 000000006164: 7F7E0280
	v_accvgpr_write_b32 a200, 0                                // 000000006168: D3D940C8 18000080
	v_mov_b32_e32 v192, 0                                      // 000000006170: 7F800280
	v_accvgpr_write_b32 a201, 0                                // 000000006174: D3D940C9 18000080
	v_mov_b32_e32 v193, 0                                      // 00000000617C: 7F820280
	v_accvgpr_write_b32 a202, 0                                // 000000006180: D3D940CA 18000080
	v_mov_b32_e32 v194, 0                                      // 000000006188: 7F840280
	v_accvgpr_write_b32 a203, 0                                // 00000000618C: D3D940CB 18000080
	v_mov_b32_e32 v195, 0                                      // 000000006194: 7F860280
	v_accvgpr_write_b32 a204, 0                                // 000000006198: D3D940CC 18000080
	v_mov_b32_e32 v196, 0                                      // 0000000061A0: 7F880280
	v_accvgpr_write_b32 a205, 0                                // 0000000061A4: D3D940CD 18000080
	v_mov_b32_e32 v197, 0                                      // 0000000061AC: 7F8A0280
	v_accvgpr_write_b32 a206, 0                                // 0000000061B0: D3D940CE 18000080
	v_mov_b32_e32 v198, 0                                      // 0000000061B8: 7F8C0280
	v_accvgpr_write_b32 a207, 0                                // 0000000061BC: D3D940CF 18000080
	v_mov_b32_e32 v199, 0                                      // 0000000061C4: 7F8E0280
	v_accvgpr_write_b32 a208, 0                                // 0000000061C8: D3D940D0 18000080
	v_mov_b32_e32 v200, 0                                      // 0000000061D0: 7F900280
	v_accvgpr_write_b32 a209, 0                                // 0000000061D4: D3D940D1 18000080
	v_mov_b32_e32 v201, 0                                      // 0000000061DC: 7F920280
	v_accvgpr_write_b32 a210, 0                                // 0000000061E0: D3D940D2 18000080
	v_mov_b32_e32 v202, 0                                      // 0000000061E8: 7F940280
	v_accvgpr_write_b32 a211, 0                                // 0000000061EC: D3D940D3 18000080
	v_mov_b32_e32 v203, 0                                      // 0000000061F4: 7F960280
	v_accvgpr_write_b32 a212, 0                                // 0000000061F8: D3D940D4 18000080
	v_mov_b32_e32 v204, 0                                      // 000000006200: 7F980280
	v_accvgpr_write_b32 a213, 0                                // 000000006204: D3D940D5 18000080
	v_mov_b32_e32 v205, 0                                      // 00000000620C: 7F9A0280
	v_accvgpr_write_b32 a214, 0                                // 000000006210: D3D940D6 18000080
	v_mov_b32_e32 v206, 0                                      // 000000006218: 7F9C0280
	v_accvgpr_write_b32 a215, 0                                // 00000000621C: D3D940D7 18000080
	v_mov_b32_e32 v207, 0                                      // 000000006224: 7F9E0280
	v_accvgpr_write_b32 a216, 0                                // 000000006228: D3D940D8 18000080
	v_mov_b32_e32 v208, 0                                      // 000000006230: 7FA00280
	v_accvgpr_write_b32 a217, 0                                // 000000006234: D3D940D9 18000080
	v_mov_b32_e32 v209, 0                                      // 00000000623C: 7FA20280
	v_accvgpr_write_b32 a218, 0                                // 000000006240: D3D940DA 18000080
	v_mov_b32_e32 v210, 0                                      // 000000006248: 7FA40280
	v_accvgpr_write_b32 a219, 0                                // 00000000624C: D3D940DB 18000080
	v_mov_b32_e32 v211, 0                                      // 000000006254: 7FA60280
	v_accvgpr_write_b32 a220, 0                                // 000000006258: D3D940DC 18000080
	v_mov_b32_e32 v212, 0                                      // 000000006260: 7FA80280
	v_accvgpr_write_b32 a221, 0                                // 000000006264: D3D940DD 18000080
	v_mov_b32_e32 v213, 0                                      // 00000000626C: 7FAA0280
	v_accvgpr_write_b32 a222, 0                                // 000000006270: D3D940DE 18000080
	v_mov_b32_e32 v214, 0                                      // 000000006278: 7FAC0280
	v_accvgpr_write_b32 a223, 0                                // 00000000627C: D3D940DF 18000080
	v_mov_b32_e32 v215, 0                                      // 000000006284: 7FAE0280
	v_accvgpr_write_b32 a224, 0                                // 000000006288: D3D940E0 18000080
	v_mov_b32_e32 v216, 0                                      // 000000006290: 7FB00280
	v_accvgpr_write_b32 a225, 0                                // 000000006294: D3D940E1 18000080
	v_mov_b32_e32 v217, 0                                      // 00000000629C: 7FB20280
	v_accvgpr_write_b32 a226, 0                                // 0000000062A0: D3D940E2 18000080
	v_mov_b32_e32 v218, 0                                      // 0000000062A8: 7FB40280
	v_accvgpr_write_b32 a227, 0                                // 0000000062AC: D3D940E3 18000080
	v_mov_b32_e32 v219, 0                                      // 0000000062B4: 7FB60280
	v_accvgpr_write_b32 a228, 0                                // 0000000062B8: D3D940E4 18000080
	v_mov_b32_e32 v220, 0                                      // 0000000062C0: 7FB80280
	v_accvgpr_write_b32 a229, 0                                // 0000000062C4: D3D940E5 18000080
	v_mov_b32_e32 v221, 0                                      // 0000000062CC: 7FBA0280
	v_accvgpr_write_b32 a230, 0                                // 0000000062D0: D3D940E6 18000080
	v_mov_b32_e32 v222, 0                                      // 0000000062D8: 7FBC0280
	v_accvgpr_write_b32 a231, 0                                // 0000000062DC: D3D940E7 18000080
	v_mov_b32_e32 v223, 0                                      // 0000000062E4: 7FBE0280
	v_accvgpr_write_b32 a232, 0                                // 0000000062E8: D3D940E8 18000080
	v_mov_b32_e32 v224, 0                                      // 0000000062F0: 7FC00280
	v_accvgpr_write_b32 a233, 0                                // 0000000062F4: D3D940E9 18000080
	v_mov_b32_e32 v225, 0                                      // 0000000062FC: 7FC20280
	v_accvgpr_write_b32 a234, 0                                // 000000006300: D3D940EA 18000080
	v_mov_b32_e32 v226, 0                                      // 000000006308: 7FC40280
	v_accvgpr_write_b32 a235, 0                                // 00000000630C: D3D940EB 18000080
	v_mov_b32_e32 v227, 0                                      // 000000006314: 7FC60280
	v_accvgpr_write_b32 a236, 0                                // 000000006318: D3D940EC 18000080
	v_mov_b32_e32 v228, 0                                      // 000000006320: 7FC80280
	v_accvgpr_write_b32 a237, 0                                // 000000006324: D3D940ED 18000080
	v_mov_b32_e32 v229, 0                                      // 00000000632C: 7FCA0280
	v_accvgpr_write_b32 a238, 0                                // 000000006330: D3D940EE 18000080
	v_mov_b32_e32 v230, 0                                      // 000000006338: 7FCC0280
	v_accvgpr_write_b32 a239, 0                                // 00000000633C: D3D940EF 18000080
	v_mov_b32_e32 v231, 0                                      // 000000006344: 7FCE0280
	v_accvgpr_write_b32 a240, 0                                // 000000006348: D3D940F0 18000080
	v_mov_b32_e32 v232, 0                                      // 000000006350: 7FD00280
	v_accvgpr_write_b32 a241, 0                                // 000000006354: D3D940F1 18000080
	v_mov_b32_e32 v233, 0                                      // 00000000635C: 7FD20280
	v_accvgpr_write_b32 a242, 0                                // 000000006360: D3D940F2 18000080
	v_mov_b32_e32 v234, 0                                      // 000000006368: 7FD40280
	v_accvgpr_write_b32 a243, 0                                // 00000000636C: D3D940F3 18000080
	v_mov_b32_e32 v235, 0                                      // 000000006374: 7FD60280
	v_accvgpr_write_b32 a244, 0                                // 000000006378: D3D940F4 18000080
	v_mov_b32_e32 v236, 0                                      // 000000006380: 7FD80280
	v_accvgpr_write_b32 a245, 0                                // 000000006384: D3D940F5 18000080
	v_mov_b32_e32 v237, 0                                      // 00000000638C: 7FDA0280
	v_accvgpr_write_b32 a246, 0                                // 000000006390: D3D940F6 18000080
	v_mov_b32_e32 v238, 0                                      // 000000006398: 7FDC0280
	v_accvgpr_write_b32 a247, 0                                // 00000000639C: D3D940F7 18000080
	v_mov_b32_e32 v239, 0                                      // 0000000063A4: 7FDE0280
	v_accvgpr_write_b32 a248, 0                                // 0000000063A8: D3D940F8 18000080
	v_mov_b32_e32 v240, 0                                      // 0000000063B0: 7FE00280
	v_accvgpr_write_b32 a249, 0                                // 0000000063B4: D3D940F9 18000080
	v_mov_b32_e32 v241, 0                                      // 0000000063BC: 7FE20280
	v_accvgpr_write_b32 a250, 0                                // 0000000063C0: D3D940FA 18000080
	v_mov_b32_e32 v242, 0                                      // 0000000063C8: 7FE40280
	v_accvgpr_write_b32 a251, 0                                // 0000000063CC: D3D940FB 18000080
	v_mov_b32_e32 v243, 0                                      // 0000000063D4: 7FE60280
	v_accvgpr_write_b32 a252, 0                                // 0000000063D8: D3D940FC 18000080
	v_mov_b32_e32 v244, 0                                      // 0000000063E0: 7FE80280
	v_accvgpr_write_b32 a253, 0                                // 0000000063E4: D3D940FD 18000080
	v_mov_b32_e32 v245, 0                                      // 0000000063EC: 7FEA0280
	v_accvgpr_write_b32 a254, 0                                // 0000000063F0: D3D940FE 18000080
	v_mov_b32_e32 v246, 0                                      // 0000000063F8: 7FEC0280
	v_accvgpr_write_b32 a255, 0                                // 0000000063FC: D3D940FF 18000080
	v_mov_b32_e32 v247, 0                                      // 000000006404: 7FEE0280
	v_mov_b32_e32 v136, 0                                      // 000000006408: 7F100280
	v_mov_b32_e32 v137, 0                                      // 00000000640C: 7F120280
	v_mov_b32_e32 v138, 0                                      // 000000006410: 7F140280
	v_mov_b32_e32 v139, 0                                      // 000000006414: 7F160280
	v_mov_b32_e32 v140, 0                                      // 000000006418: 7F180280
	v_mov_b32_e32 v141, 0                                      // 00000000641C: 7F1A0280
	v_mov_b32_e32 v142, 0                                      // 000000006420: 7F1C0280
	v_mov_b32_e32 v143, 0                                      // 000000006424: 7F1E0280
	v_mov_b32_e32 v128, 0                                      // 000000006428: 7F000280
	v_mov_b32_e32 v129, 0                                      // 00000000642C: 7F020280
	v_mov_b32_e32 v130, 0                                      // 000000006430: 7F040280
	v_mov_b32_e32 v131, 0                                      // 000000006434: 7F060280
	v_mov_b32_e32 v132, 0                                      // 000000006438: 7F080280
	v_mov_b32_e32 v133, 0                                      // 00000000643C: 7F0A0280
	v_mov_b32_e32 v134, 0                                      // 000000006440: 7F0C0280
	v_mov_b32_e32 v135, 0                                      // 000000006444: 7F0E0280
	s_waitcnt lgkmcnt(0)                                       // 000000006448: BF8CC07F
	s_barrier                                                  // 00000000644C: BF8A0000
	v_mov_b32_e32 v32, 0                                       // 000000006450: 7E400280
	s_mov_b64 exec, s[88:89]                                   // 000000006454: BEFE0158
	buffer_load_dword v32, v1, s[8:11], 0 idxen                // 000000006458: E0502000 80022001
	s_mov_b64 exec, s[86:87]                                   // 000000006460: BEFE0156
	v_mov_b32_e32 v33, 0                                       // 000000006464: 7E420280
	s_mov_b64 exec, s[88:89]                                   // 000000006468: BEFE0158
	buffer_load_dword v33, v2, s[8:11], 0 idxen                // 00000000646C: E0502000 80022102
	s_mov_b64 exec, s[86:87]                                   // 000000006474: BEFE0156
	v_mov_b32_e32 v34, 0                                       // 000000006478: 7E440280
	s_mov_b64 exec, s[88:89]                                   // 00000000647C: BEFE0158
	buffer_load_dword v34, v3, s[8:11], 0 idxen                // 000000006480: E0502000 80022203
	s_mov_b64 exec, s[86:87]                                   // 000000006488: BEFE0156
	v_mov_b32_e32 v35, 0                                       // 00000000648C: 7E460280
	s_mov_b64 exec, s[88:89]                                   // 000000006490: BEFE0158
	buffer_load_dword v35, v4, s[8:11], 0 idxen                // 000000006494: E0502000 80022304
	s_mov_b64 exec, s[86:87]                                   // 00000000649C: BEFE0156
	v_mov_b32_e32 v40, 0                                       // 0000000064A0: 7E500280
	s_mov_b64 exec, s[88:89]                                   // 0000000064A4: BEFE0158
	buffer_load_dword v40, v252, s[20:23], 0 idxen             // 0000000064A8: E0502000 800528FC
	s_mov_b64 exec, s[86:87]                                   // 0000000064B0: BEFE0156
	v_mov_b32_e32 v41, 0                                       // 0000000064B4: 7E520280
	s_mov_b64 exec, s[88:89]                                   // 0000000064B8: BEFE0158
	buffer_load_dword v41, v253, s[20:23], 0 idxen             // 0000000064BC: E0502000 800529FD
	s_mov_b64 exec, s[86:87]                                   // 0000000064C4: BEFE0156
	v_mov_b32_e32 v42, 0                                       // 0000000064C8: 7E540280
	s_mov_b64 exec, s[88:89]                                   // 0000000064CC: BEFE0158
	buffer_load_dword v42, v254, s[20:23], 0 idxen             // 0000000064D0: E0502000 80052AFE
	s_mov_b64 exec, s[86:87]                                   // 0000000064D8: BEFE0156
	v_mov_b32_e32 v43, 0                                       // 0000000064DC: 7E560280
	s_mov_b64 exec, s[88:89]                                   // 0000000064E0: BEFE0158
	buffer_load_dword v43, v255, s[20:23], 0 idxen             // 0000000064E4: E0502000 80052BFF
	s_mov_b64 exec, s[86:87]                                   // 0000000064EC: BEFE0156
	buffer_load_dword v9, s[24:27], 0 idxen lds                // 0000000064F0: E0512000 80060009
	s_mov_b32 m0, s77                                          // 0000000064F8: BEFC004D
	v_add_u32_e32 v9, s69, v9                                  // 0000000064FC: 68121245
	v_add_u32_e32 v1, s68, v1                                  // 000000006500: 68020244
	v_add_u32_e32 v2, s68, v2                                  // 000000006504: 68040444
	v_add_u32_e32 v3, s68, v3                                  // 000000006508: 68060644
	v_add_u32_e32 v4, s68, v4                                  // 00000000650C: 68080844
	v_add_u32_e32 v252, s97, v252                              // 000000006510: 69F9F861
	v_add_u32_e32 v253, s97, v253                              // 000000006514: 69FBFA61
	v_add_u32_e32 v254, s97, v254                              // 000000006518: 69FDFC61
	v_add_u32_e32 v255, s97, v255                              // 00000000651C: 69FFFE61
	v_cmp_eq_u32_e32 vcc, v124, v151                           // 000000006520: 7D952F7C
	v_mov_b32_e32 v28, 0                                       // 000000006524: 7E380280
	v_cndmask_b32_e32 v124, v124, v28, vcc                     // 000000006528: 00F8397C
	v_mul_f32_e32 v124, s48, v124                              // 00000000652C: 0AF8F830
	v_perm_b32 v84, v37, v36, s63                              // 000000006530: D1ED0054 00FE4925
	v_perm_b32 v85, v37, v36, s64                              // 000000006538: D1ED0055 01024925
	v_perm_b32 v86, v39, v38, s63                              // 000000006540: D1ED0056 00FE4D27
	v_perm_b32 v87, v39, v38, s64                              // 000000006548: D1ED0057 01024D27
	v_perm_b32 v88, v45, v44, s63                              // 000000006550: D1ED0058 00FE592D
	v_perm_b32 v89, v45, v44, s64                              // 000000006558: D1ED0059 0102592D
	v_perm_b32 v90, v47, v46, s63                              // 000000006560: D1ED005A 00FE5D2F
	v_perm_b32 v91, v47, v46, s64                              // 000000006568: D1ED005B 01025D2F
	v_mov_b32_dpp v127, v124 quad_perm:[3,3,3,3] row_mask:0xf bank_mask:0xf// 000000006570: 7EFE02FA FF00FF7C
	v_mov_b32_dpp v126, v124 quad_perm:[2,2,2,2] row_mask:0xf bank_mask:0xf// 000000006578: 7EFC02FA FF00AA7C
	v_mov_b32_dpp v125, v124 quad_perm:[1,1,1,1] row_mask:0xf bank_mask:0xf// 000000006580: 7EFA02FA FF00557C
	v_mov_b32_dpp v124, v124 quad_perm:[0,0,0,0] row_mask:0xf bank_mask:0xf// 000000006588: 7EF802FA FF00007C
	s_waitcnt vmcnt(9)                                         // 000000006590: BF8C0F79
	s_barrier                                                  // 000000006594: BF8A0000
	s_cmp_lt_i32 s46, 2                                        // 000000006598: BF04822E
	s_cbranch_scc0 label_1364                                  // 00000000659C: BF840970
	s_nop 0                                                    // 0000000065A0: BF800000
	s_nop 0                                                    // 0000000065A4: BF800000

00000000000065a8 <label_09EA>:
	s_waitcnt lgkmcnt(0)                                       // 0000000065A8: BF8CC07F
	s_barrier                                                  // 0000000065AC: BF8A0000
	v_mfma_f32_16x16x16_bf16 v[48:51], a[144:145], a[0:1], 0   // 0000000065B0: D3E10030 1A020190
	ds_write_b32 v11, v44 offset:8704                          // 0000000065B8: D81A2200 00002C0B
	ds_write_b32 v11, v45 offset:9760                          // 0000000065C0: D81A2620 00002D0B
	v_mfma_f32_16x16x16_bf16 v[48:51], a[146:147], a[2:3], v[48:51]// 0000000065C8: D3E10030 1CC20592
	v_mul_f32_e32 v128, s47, v128                              // 0000000065D0: 0B01002F
	v_mul_f32_e32 v129, s47, v129                              // 0000000065D4: 0B03022F
	v_mfma_f32_16x16x16_bf16 v[48:51], a[148:149], a[4:5], v[48:51]// 0000000065D8: D3E10030 1CC20994
	ds_write_b32 v11, v46 offset:8832                          // 0000000065E0: D81A2280 00002E0B
	ds_write_b32 v11, v47 offset:9888                          // 0000000065E8: D81A26A0 00002F0B
	v_mfma_f32_16x16x16_bf16 v[48:51], a[150:151], a[6:7], v[48:51]// 0000000065F0: D3E10030 1CC20D96
	v_mul_f32_e32 v130, s47, v130                              // 0000000065F8: 0B05042F
	v_mul_f32_e32 v131, s47, v131                              // 0000000065FC: 0B07062F
	v_mfma_f32_16x16x16_bf16 v[48:51], a[152:153], a[8:9], v[48:51]// 000000006600: D3E10030 1CC21198
	ds_write_b64 v20, v[128:129] offset:24320                  // 000000006608: D89A5F00 00008014
	v_mfma_f32_16x16x16_bf16 v[48:51], a[154:155], a[10:11], v[48:51]// 000000006610: D3E10030 1CC2159A
	v_mul_f32_e32 v132, s47, v132                              // 000000006618: 0B09082F
	v_mul_f32_e32 v133, s47, v133                              // 00000000661C: 0B0B0A2F
	v_mfma_f32_16x16x16_bf16 v[48:51], a[156:157], a[12:13], v[48:51]// 000000006620: D3E10030 1CC2199C
	ds_write_b64 v20, v[130:131] offset:24832                  // 000000006628: D89A6100 00008214
	v_mfma_f32_16x16x16_bf16 v[48:51], a[158:159], a[14:15], v[48:51]// 000000006630: D3E10030 1CC21D9E
	v_mul_f32_e32 v134, s47, v134                              // 000000006638: 0B0D0C2F
	v_mul_f32_e32 v135, s47, v135                              // 00000000663C: 0B0F0E2F
	v_mfma_f32_16x16x16_bf16 v[52:55], a[144:145], a[16:17], 0 // 000000006640: D3E10034 1A022190
	ds_write_b64 v20, v[132:133] offset:25344                  // 000000006648: D89A6300 00008414
	v_mfma_f32_16x16x16_bf16 v[52:55], a[146:147], a[18:19], v[52:55]// 000000006650: D3E10034 1CD22592
	buffer_atomic_add_f32 v140, v7, s[32:35], 0 offen offset:256// 000000006658: E1341100 80088C07
	v_mfma_f32_16x16x16_bf16 v[52:55], a[148:149], a[20:21], v[52:55]// 000000006660: D3E10034 1CD22994
	ds_write_b64 v20, v[134:135] offset:25856                  // 000000006668: D89A6500 00008614
	v_mfma_f32_16x16x16_bf16 v[52:55], a[150:151], a[22:23], v[52:55]// 000000006670: D3E10034 1CD22D96
	v_mfma_f32_16x16x16_bf16 v[52:55], a[152:153], a[24:25], v[52:55]// 000000006678: D3E10034 1CD23198
	ds_read_b128 v[108:111], v12 offset:13056                  // 000000006680: D9FE3300 6C00000C
	ds_write_b32 v11, v36                                      // 000000006688: D81A0000 0000240B
	v_mfma_f32_16x16x16_bf16 v[52:55], a[154:155], a[26:27], v[52:55]// 000000006690: D3E10034 1CD2359A
	buffer_atomic_add_f32 v141, v8, s[32:35], 0 offen offset:256// 000000006698: E1341100 80088D08
	v_mfma_f32_16x16x16_bf16 v[52:55], a[156:157], a[28:29], v[52:55]// 0000000066A0: D3E10034 1CD2399C
	v_mfma_f32_16x16x16_bf16 v[52:55], a[158:159], a[30:31], v[52:55]// 0000000066A8: D3E10034 1CD23D9E
	ds_read_b128 v[112:115], v12 offset:13568                  // 0000000066B0: D9FE3500 7000000C
	ds_write_b32 v11, v37 offset:1056                          // 0000000066B8: D81A0420 0000250B
	v_mfma_f32_16x16x16_bf16 v[56:59], a[144:145], a[32:33], 0 // 0000000066C0: D3E10038 1A024190
	buffer_atomic_add_f32 v142, v7, s[32:35], 0 offen offset:384// 0000000066C8: E1341180 80088E07
	v_mfma_f32_16x16x16_bf16 v[56:59], a[146:147], a[34:35], v[56:59]// 0000000066D0: D3E10038 1CE24592
	v_mfma_f32_16x16x16_bf16 v[56:59], a[148:149], a[36:37], v[56:59]// 0000000066D8: D3E10038 1CE24994
	ds_read_b128 v[116:119], v12 offset:15232                  // 0000000066E0: D9FE3B80 7400000C
	ds_write_b32 v11, v38 offset:128                           // 0000000066E8: D81A0080 0000260B
	v_mfma_f32_16x16x16_bf16 v[56:59], a[150:151], a[38:39], v[56:59]// 0000000066F0: D3E10038 1CE24D96
	v_mfma_f32_16x16x16_bf16 v[56:59], a[152:153], a[40:41], v[56:59]// 0000000066F8: D3E10038 1CE25198
	buffer_atomic_add_f32 v143, v8, s[32:35], 0 offen offset:384// 000000006700: E1341180 80088F08
	v_mfma_f32_16x16x16_bf16 v[56:59], a[154:155], a[42:43], v[56:59]// 000000006708: D3E10038 1CE2559A
	ds_read_b128 v[120:123], v12 offset:15744                  // 000000006710: D9FE3D80 7800000C
	ds_write_b32 v11, v39 offset:1184                          // 000000006718: D81A04A0 0000270B
	v_mfma_f32_16x16x16_bf16 v[56:59], a[156:157], a[44:45], v[56:59]// 000000006720: D3E10038 1CE2599C
	v_mfma_f32_16x16x16_bf16 v[56:59], a[158:159], a[46:47], v[56:59]// 000000006728: D3E10038 1CE25D9E
	s_add_i32 s82, s59, s99                                    // 000000006730: 8152633B
	s_sub_i32 s82, s82, 1                                      // 000000006734: 81D28152
	s_add_i32 s81, s59, 16                                     // 000000006738: 8151903B
	s_sub_i32 s81, s81, s100                                   // 00000000673C: 81D16451
	s_add_i32 s81, s81, 1                                      // 000000006740: 81518151
	s_branch label_0A52                                        // 000000006744: BF820000

0000000000006748 <label_0A52>:
	s_add_i32 s62, 0, s46                                      // 000000006748: 813E2E80
	s_mul_i32 s62, s62, 16                                     // 00000000674C: 923E903E
	s_add_i32 s62, s80, s62                                    // 000000006750: 813E3E50
	s_add_i32 s61, s62, 16                                     // 000000006754: 813D903E
	s_add_i32 s61, s61, 16                                     // 000000006758: 813D903D
	s_cmp_lt_i32 s61, s81                                      // 00000000675C: BF04513D
	s_cselect_b32 s60, 1, 0                                    // 000000006760: 853C8081
	s_sub_i32 s62, s62, 16                                     // 000000006764: 81BE903E
	s_cmp_gt_i32 s62, s82                                      // 000000006768: BF02523E
	s_cselect_b32 s61, 1, 0                                    // 00000000676C: 853D8081
	s_or_b32 s60, s60, s61                                     // 000000006770: 873C3D3C
	s_cmp_eq_i32 s60, 1                                        // 000000006774: BF00813C
	s_cbranch_scc1 label_0AE5                                  // 000000006778: BF850085
	s_add_i32 s61, s62, 32                                     // 00000000677C: 813DA03E
	s_add_i32 s62, s62, 16                                     // 000000006780: 813E903E
	s_cmp_lt_i32 s62, s81                                      // 000000006784: BF04513E
	s_cselect_b32 s60, 1, 0                                    // 000000006788: 853C8081
	s_cmp_gt_i32 s61, s82                                      // 00000000678C: BF02523D
	s_cselect_b32 s61, 1, 0                                    // 000000006790: 853D8081
	s_or_b32 s60, s60, s61                                     // 000000006794: 873C3D3C
	s_cmp_eq_i32 s60, 1                                        // 000000006798: BF00813C
	s_cbranch_scc1 label_0A98                                  // 00000000679C: BF85002F
	s_branch label_0A69                                        // 0000000067A0: BF820000

00000000000067a4 <label_0A69>:
	s_add_i32 s62, 4, s46                                      // 0000000067A4: 813E2E84
	s_mul_i32 s62, s62, 16                                     // 0000000067A8: 923E903E
	s_add_i32 s62, s80, s62                                    // 0000000067AC: 813E3E50
	s_add_i32 s61, s62, 16                                     // 0000000067B0: 813D903E
	s_add_i32 s61, s61, 16                                     // 0000000067B4: 813D903D
	s_cmp_lt_i32 s61, s81                                      // 0000000067B8: BF04513D
	s_cselect_b32 s60, 1, 0                                    // 0000000067BC: 853C8081
	s_sub_i32 s62, s62, 16                                     // 0000000067C0: 81BE903E
	s_cmp_gt_i32 s62, s82                                      // 0000000067C4: BF02523E
	s_cselect_b32 s61, 1, 0                                    // 0000000067C8: 853D8081
	s_or_b32 s60, s60, s61                                     // 0000000067CC: 873C3D3C
	s_cmp_eq_i32 s60, 1                                        // 0000000067D0: BF00813C
	s_cbranch_scc1 label_0B37                                  // 0000000067D4: BF8500C0
	s_add_i32 s61, s62, 32                                     // 0000000067D8: 813DA03E
	s_add_i32 s62, s62, 16                                     // 0000000067DC: 813E903E
	s_cmp_lt_i32 s62, s81                                      // 0000000067E0: BF04513E
	s_cselect_b32 s60, 1, 0                                    // 0000000067E4: 853C8081
	s_cmp_gt_i32 s61, s82                                      // 0000000067E8: BF02523D
	s_cselect_b32 s61, 1, 0                                    // 0000000067EC: 853D8081
	s_or_b32 s60, s60, s61                                     // 0000000067F0: 873C3D3C
	s_cmp_eq_i32 s60, 1                                        // 0000000067F4: BF00813C
	s_cbranch_scc1 label_0AEA                                  // 0000000067F8: BF85006A
	s_branch label_0A80                                        // 0000000067FC: BF820000

0000000000006800 <label_0A80>:
	s_add_i32 s62, 8, s46                                      // 000000006800: 813E2E88
	s_mul_i32 s62, s62, 16                                     // 000000006804: 923E903E
	s_add_i32 s62, s80, s62                                    // 000000006808: 813E3E50
	s_add_i32 s61, s62, 16                                     // 00000000680C: 813D903E
	s_add_i32 s61, s61, 16                                     // 000000006810: 813D903D
	s_cmp_lt_i32 s61, s81                                      // 000000006814: BF04513D
	s_cselect_b32 s60, 1, 0                                    // 000000006818: 853C8081
	s_sub_i32 s62, s62, 16                                     // 00000000681C: 81BE903E
	s_cmp_gt_i32 s62, s82                                      // 000000006820: BF02523E
	s_cselect_b32 s61, 1, 0                                    // 000000006824: 853D8081
	s_or_b32 s60, s60, s61                                     // 000000006828: 873C3D3C
	s_cmp_eq_i32 s60, 1                                        // 00000000682C: BF00813C
	s_cbranch_scc1 label_0B89                                  // 000000006830: BF8500FB
	s_add_i32 s61, s62, 32                                     // 000000006834: 813DA03E
	s_add_i32 s62, s62, 16                                     // 000000006838: 813E903E
	s_cmp_lt_i32 s62, s81                                      // 00000000683C: BF04513E
	s_cselect_b32 s60, 1, 0                                    // 000000006840: 853C8081
	s_cmp_gt_i32 s61, s82                                      // 000000006844: BF02523D
	s_cselect_b32 s61, 1, 0                                    // 000000006848: 853D8081
	s_or_b32 s60, s60, s61                                     // 00000000684C: 873C3D3C
	s_cmp_eq_i32 s60, 1                                        // 000000006850: BF00813C
	s_cbranch_scc1 label_0B3C                                  // 000000006854: BF8500A5
	s_branch label_0B8E                                        // 000000006858: BF8200F6

000000000000685c <label_0A98>:
	v_and_b32_e32 v28, 15, v0                                  // 00000000685C: 2638008F
	v_add_u32_e32 v28, s62, v28                                // 000000006860: 6838383E
	v_lshrrev_b32_e32 v29, 4, v0                               // 000000006864: 203A0084
	v_lshlrev_b32_e32 v29, 2, v29                              // 000000006868: 243A3A82
	v_add_i32 v29, 0, v29                                      // 00000000686C: D29C001D 00023A80
	v_add_i32 v29, s59, v29                                    // 000000006874: D29C001D 00023A3B
	v_sub_i32 v29, v29, v28                                    // 00000000687C: D29D001D 0002391D
	v_cmp_ge_i32_e64 vcc, v29, s100                            // 000000006884: D0C6006A 0000C91D
	v_sub_i32 v29, 0, v29                                      // 00000000688C: D29D001D 00023A80
	v_cndmask_b32_e32 v48, v48, v151, vcc                      // 000000006894: 00612F30
	v_cmp_ge_i32_e64 vcc, v29, s99                             // 000000006898: D0C6006A 0000C71D
	s_nop 1                                                    // 0000000068A0: BF800001
	v_cndmask_b32_e32 v48, v48, v151, vcc                      // 0000000068A4: 00612F30
	v_and_b32_e32 v28, 15, v0                                  // 0000000068A8: 2638008F
	v_add_u32_e32 v28, s62, v28                                // 0000000068AC: 6838383E
	v_lshrrev_b32_e32 v29, 4, v0                               // 0000000068B0: 203A0084
	v_lshlrev_b32_e32 v29, 2, v29                              // 0000000068B4: 243A3A82
	v_add_i32 v29, 1, v29                                      // 0000000068B8: D29C001D 00023A81
	v_add_i32 v29, s59, v29                                    // 0000000068C0: D29C001D 00023A3B
	v_sub_i32 v29, v29, v28                                    // 0000000068C8: D29D001D 0002391D
	v_cmp_ge_i32_e64 vcc, v29, s100                            // 0000000068D0: D0C6006A 0000C91D
	v_sub_i32 v29, 0, v29                                      // 0000000068D8: D29D001D 00023A80
	v_cndmask_b32_e32 v49, v49, v151, vcc                      // 0000000068E0: 00632F31
	v_cmp_ge_i32_e64 vcc, v29, s99                             // 0000000068E4: D0C6006A 0000C71D
	s_nop 1                                                    // 0000000068EC: BF800001
	v_cndmask_b32_e32 v49, v49, v151, vcc                      // 0000000068F0: 00632F31
	v_and_b32_e32 v28, 15, v0                                  // 0000000068F4: 2638008F
	v_add_u32_e32 v28, s62, v28                                // 0000000068F8: 6838383E
	v_lshrrev_b32_e32 v29, 4, v0                               // 0000000068FC: 203A0084
	v_lshlrev_b32_e32 v29, 2, v29                              // 000000006900: 243A3A82
	v_add_i32 v29, 2, v29                                      // 000000006904: D29C001D 00023A82
	v_add_i32 v29, s59, v29                                    // 00000000690C: D29C001D 00023A3B
	v_sub_i32 v29, v29, v28                                    // 000000006914: D29D001D 0002391D
	v_cmp_ge_i32_e64 vcc, v29, s100                            // 00000000691C: D0C6006A 0000C91D
	v_sub_i32 v29, 0, v29                                      // 000000006924: D29D001D 00023A80
	v_cndmask_b32_e32 v50, v50, v151, vcc                      // 00000000692C: 00652F32
	v_cmp_ge_i32_e64 vcc, v29, s99                             // 000000006930: D0C6006A 0000C71D
	s_nop 1                                                    // 000000006938: BF800001
	v_cndmask_b32_e32 v50, v50, v151, vcc                      // 00000000693C: 00652F32
	v_and_b32_e32 v28, 15, v0                                  // 000000006940: 2638008F
	v_add_u32_e32 v28, s62, v28                                // 000000006944: 6838383E
	v_lshrrev_b32_e32 v29, 4, v0                               // 000000006948: 203A0084
	v_lshlrev_b32_e32 v29, 2, v29                              // 00000000694C: 243A3A82
	v_add_i32 v29, 3, v29                                      // 000000006950: D29C001D 00023A83
	v_add_i32 v29, s59, v29                                    // 000000006958: D29C001D 00023A3B
	v_sub_i32 v29, v29, v28                                    // 000000006960: D29D001D 0002391D
	v_cmp_ge_i32_e64 vcc, v29, s100                            // 000000006968: D0C6006A 0000C91D
	v_sub_i32 v29, 0, v29                                      // 000000006970: D29D001D 00023A80
	v_cndmask_b32_e32 v51, v51, v151, vcc                      // 000000006978: 00672F33
	v_cmp_ge_i32_e64 vcc, v29, s99                             // 00000000697C: D0C6006A 0000C71D
	s_nop 1                                                    // 000000006984: BF800001
	v_cndmask_b32_e32 v51, v51, v151, vcc                      // 000000006988: 00672F33
	s_branch label_0A69                                        // 00000000698C: BF82FF85

0000000000006990 <label_0AE5>:
	v_mov_b32_e32 v48, v151                                    // 000000006990: 7E600397
	v_mov_b32_e32 v49, v151                                    // 000000006994: 7E620397
	v_mov_b32_e32 v50, v151                                    // 000000006998: 7E640397
	v_mov_b32_e32 v51, v151                                    // 00000000699C: 7E660397
	s_branch label_0A69                                        // 0000000069A0: BF82FF80

00000000000069a4 <label_0AEA>:
	v_and_b32_e32 v28, 15, v0                                  // 0000000069A4: 2638008F
	v_add_u32_e32 v28, s62, v28                                // 0000000069A8: 6838383E
	v_lshrrev_b32_e32 v29, 4, v0                               // 0000000069AC: 203A0084
	v_lshlrev_b32_e32 v29, 2, v29                              // 0000000069B0: 243A3A82
	v_add_i32 v29, 0, v29                                      // 0000000069B4: D29C001D 00023A80
	v_add_i32 v29, s59, v29                                    // 0000000069BC: D29C001D 00023A3B
	v_sub_i32 v29, v29, v28                                    // 0000000069C4: D29D001D 0002391D
	v_cmp_ge_i32_e64 vcc, v29, s100                            // 0000000069CC: D0C6006A 0000C91D
	v_sub_i32 v29, 0, v29                                      // 0000000069D4: D29D001D 00023A80
	v_cndmask_b32_e32 v52, v52, v151, vcc                      // 0000000069DC: 00692F34
	v_cmp_ge_i32_e64 vcc, v29, s99                             // 0000000069E0: D0C6006A 0000C71D
	s_nop 1                                                    // 0000000069E8: BF800001
	v_cndmask_b32_e32 v52, v52, v151, vcc                      // 0000000069EC: 00692F34
	v_and_b32_e32 v28, 15, v0                                  // 0000000069F0: 2638008F
	v_add_u32_e32 v28, s62, v28                                // 0000000069F4: 6838383E
	v_lshrrev_b32_e32 v29, 4, v0                               // 0000000069F8: 203A0084
	v_lshlrev_b32_e32 v29, 2, v29                              // 0000000069FC: 243A3A82
	v_add_i32 v29, 1, v29                                      // 000000006A00: D29C001D 00023A81
	v_add_i32 v29, s59, v29                                    // 000000006A08: D29C001D 00023A3B
	v_sub_i32 v29, v29, v28                                    // 000000006A10: D29D001D 0002391D
	v_cmp_ge_i32_e64 vcc, v29, s100                            // 000000006A18: D0C6006A 0000C91D
	v_sub_i32 v29, 0, v29                                      // 000000006A20: D29D001D 00023A80
	v_cndmask_b32_e32 v53, v53, v151, vcc                      // 000000006A28: 006B2F35
	v_cmp_ge_i32_e64 vcc, v29, s99                             // 000000006A2C: D0C6006A 0000C71D
	s_nop 1                                                    // 000000006A34: BF800001
	v_cndmask_b32_e32 v53, v53, v151, vcc                      // 000000006A38: 006B2F35
	v_and_b32_e32 v28, 15, v0                                  // 000000006A3C: 2638008F
	v_add_u32_e32 v28, s62, v28                                // 000000006A40: 6838383E
	v_lshrrev_b32_e32 v29, 4, v0                               // 000000006A44: 203A0084
	v_lshlrev_b32_e32 v29, 2, v29                              // 000000006A48: 243A3A82
	v_add_i32 v29, 2, v29                                      // 000000006A4C: D29C001D 00023A82
	v_add_i32 v29, s59, v29                                    // 000000006A54: D29C001D 00023A3B
	v_sub_i32 v29, v29, v28                                    // 000000006A5C: D29D001D 0002391D
	v_cmp_ge_i32_e64 vcc, v29, s100                            // 000000006A64: D0C6006A 0000C91D
	v_sub_i32 v29, 0, v29                                      // 000000006A6C: D29D001D 00023A80
	v_cndmask_b32_e32 v54, v54, v151, vcc                      // 000000006A74: 006D2F36
	v_cmp_ge_i32_e64 vcc, v29, s99                             // 000000006A78: D0C6006A 0000C71D
	s_nop 1                                                    // 000000006A80: BF800001
	v_cndmask_b32_e32 v54, v54, v151, vcc                      // 000000006A84: 006D2F36
	v_and_b32_e32 v28, 15, v0                                  // 000000006A88: 2638008F
	v_add_u32_e32 v28, s62, v28                                // 000000006A8C: 6838383E
	v_lshrrev_b32_e32 v29, 4, v0                               // 000000006A90: 203A0084
	v_lshlrev_b32_e32 v29, 2, v29                              // 000000006A94: 243A3A82
	v_add_i32 v29, 3, v29                                      // 000000006A98: D29C001D 00023A83
	v_add_i32 v29, s59, v29                                    // 000000006AA0: D29C001D 00023A3B
	v_sub_i32 v29, v29, v28                                    // 000000006AA8: D29D001D 0002391D
	v_cmp_ge_i32_e64 vcc, v29, s100                            // 000000006AB0: D0C6006A 0000C91D
	v_sub_i32 v29, 0, v29                                      // 000000006AB8: D29D001D 00023A80
	v_cndmask_b32_e32 v55, v55, v151, vcc                      // 000000006AC0: 006F2F37
	v_cmp_ge_i32_e64 vcc, v29, s99                             // 000000006AC4: D0C6006A 0000C71D
	s_nop 1                                                    // 000000006ACC: BF800001
	v_cndmask_b32_e32 v55, v55, v151, vcc                      // 000000006AD0: 006F2F37
	s_branch label_0A80                                        // 000000006AD4: BF82FF4A

0000000000006ad8 <label_0B37>:
	v_mov_b32_e32 v52, v151                                    // 000000006AD8: 7E680397
	v_mov_b32_e32 v53, v151                                    // 000000006ADC: 7E6A0397
	v_mov_b32_e32 v54, v151                                    // 000000006AE0: 7E6C0397
	v_mov_b32_e32 v55, v151                                    // 000000006AE4: 7E6E0397
	s_branch label_0A80                                        // 000000006AE8: BF82FF45

0000000000006aec <label_0B3C>:
	v_and_b32_e32 v28, 15, v0                                  // 000000006AEC: 2638008F
	v_add_u32_e32 v28, s62, v28                                // 000000006AF0: 6838383E
	v_lshrrev_b32_e32 v29, 4, v0                               // 000000006AF4: 203A0084
	v_lshlrev_b32_e32 v29, 2, v29                              // 000000006AF8: 243A3A82
	v_add_i32 v29, 0, v29                                      // 000000006AFC: D29C001D 00023A80
	v_add_i32 v29, s59, v29                                    // 000000006B04: D29C001D 00023A3B
	v_sub_i32 v29, v29, v28                                    // 000000006B0C: D29D001D 0002391D
	v_cmp_ge_i32_e64 vcc, v29, s100                            // 000000006B14: D0C6006A 0000C91D
	v_sub_i32 v29, 0, v29                                      // 000000006B1C: D29D001D 00023A80
	v_cndmask_b32_e32 v56, v56, v151, vcc                      // 000000006B24: 00712F38
	v_cmp_ge_i32_e64 vcc, v29, s99                             // 000000006B28: D0C6006A 0000C71D
	s_nop 1                                                    // 000000006B30: BF800001
	v_cndmask_b32_e32 v56, v56, v151, vcc                      // 000000006B34: 00712F38
	v_and_b32_e32 v28, 15, v0                                  // 000000006B38: 2638008F
	v_add_u32_e32 v28, s62, v28                                // 000000006B3C: 6838383E
	v_lshrrev_b32_e32 v29, 4, v0                               // 000000006B40: 203A0084
	v_lshlrev_b32_e32 v29, 2, v29                              // 000000006B44: 243A3A82
	v_add_i32 v29, 1, v29                                      // 000000006B48: D29C001D 00023A81
	v_add_i32 v29, s59, v29                                    // 000000006B50: D29C001D 00023A3B
	v_sub_i32 v29, v29, v28                                    // 000000006B58: D29D001D 0002391D
	v_cmp_ge_i32_e64 vcc, v29, s100                            // 000000006B60: D0C6006A 0000C91D
	v_sub_i32 v29, 0, v29                                      // 000000006B68: D29D001D 00023A80
	v_cndmask_b32_e32 v57, v57, v151, vcc                      // 000000006B70: 00732F39
	v_cmp_ge_i32_e64 vcc, v29, s99                             // 000000006B74: D0C6006A 0000C71D
	s_nop 1                                                    // 000000006B7C: BF800001
	v_cndmask_b32_e32 v57, v57, v151, vcc                      // 000000006B80: 00732F39
	v_and_b32_e32 v28, 15, v0                                  // 000000006B84: 2638008F
	v_add_u32_e32 v28, s62, v28                                // 000000006B88: 6838383E
	v_lshrrev_b32_e32 v29, 4, v0                               // 000000006B8C: 203A0084
	v_lshlrev_b32_e32 v29, 2, v29                              // 000000006B90: 243A3A82
	v_add_i32 v29, 2, v29                                      // 000000006B94: D29C001D 00023A82
	v_add_i32 v29, s59, v29                                    // 000000006B9C: D29C001D 00023A3B
	v_sub_i32 v29, v29, v28                                    // 000000006BA4: D29D001D 0002391D
	v_cmp_ge_i32_e64 vcc, v29, s100                            // 000000006BAC: D0C6006A 0000C91D
	v_sub_i32 v29, 0, v29                                      // 000000006BB4: D29D001D 00023A80
	v_cndmask_b32_e32 v58, v58, v151, vcc                      // 000000006BBC: 00752F3A
	v_cmp_ge_i32_e64 vcc, v29, s99                             // 000000006BC0: D0C6006A 0000C71D
	s_nop 1                                                    // 000000006BC8: BF800001
	v_cndmask_b32_e32 v58, v58, v151, vcc                      // 000000006BCC: 00752F3A
	v_and_b32_e32 v28, 15, v0                                  // 000000006BD0: 2638008F
	v_add_u32_e32 v28, s62, v28                                // 000000006BD4: 6838383E
	v_lshrrev_b32_e32 v29, 4, v0                               // 000000006BD8: 203A0084
	v_lshlrev_b32_e32 v29, 2, v29                              // 000000006BDC: 243A3A82
	v_add_i32 v29, 3, v29                                      // 000000006BE0: D29C001D 00023A83
	v_add_i32 v29, s59, v29                                    // 000000006BE8: D29C001D 00023A3B
	v_sub_i32 v29, v29, v28                                    // 000000006BF0: D29D001D 0002391D
	v_cmp_ge_i32_e64 vcc, v29, s100                            // 000000006BF8: D0C6006A 0000C91D
	v_sub_i32 v29, 0, v29                                      // 000000006C00: D29D001D 00023A80
	v_cndmask_b32_e32 v59, v59, v151, vcc                      // 000000006C08: 00772F3B
	v_cmp_ge_i32_e64 vcc, v29, s99                             // 000000006C0C: D0C6006A 0000C71D
	s_nop 1                                                    // 000000006C14: BF800001
	v_cndmask_b32_e32 v59, v59, v151, vcc                      // 000000006C18: 00772F3B
	s_branch label_0B8E                                        // 000000006C1C: BF820005

0000000000006c20 <label_0B89>:
	v_mov_b32_e32 v56, v151                                    // 000000006C20: 7E700397
	v_mov_b32_e32 v57, v151                                    // 000000006C24: 7E720397
	v_mov_b32_e32 v58, v151                                    // 000000006C28: 7E740397
	v_mov_b32_e32 v59, v151                                    // 000000006C2C: 7E760397
	s_branch label_0B8E                                        // 000000006C30: BF820000

0000000000006c34 <label_0B8E>:
	s_cmp_lt_i32 s94, 0xc0                                     // 000000006C34: BF04FF5E 000000C0
	s_cbranch_scc0 label_0BE3                                  // 000000006C3C: BF84004D
	s_cmp_le_i32 s94, 64                                       // 000000006C40: BF05C05E
	s_cbranch_scc1 label_0B9A                                  // 000000006C44: BF850007
	s_cmp_le_i32 s94, 0x80                                     // 000000006C48: BF05FF5E 00000080
	s_cbranch_scc1 label_0BB2                                  // 000000006C50: BF850017
	s_cmp_lt_i32 s94, 0xc0                                     // 000000006C54: BF04FF5E 000000C0
	s_cbranch_scc1 label_0BCA                                  // 000000006C5C: BF85002C
	s_branch label_0BE3                                        // 000000006C60: BF820044

0000000000006c64 <label_0B9A>:
	s_mov_b32 s60, 0                                           // 000000006C64: BEBC0080
	v_and_b32_e32 v28, 15, v0                                  // 000000006C68: 2638008F
	v_add_u32_e64 v28, v28, s60                                // 000000006C6C: D134001C 0000791C
	v_mul_i32_i24_e64 v29, s46, 16                             // 000000006C74: D106001D 0001202E
	v_add_u32_e32 v28, v28, v29                                // 000000006C7C: 68383B1C
	v_cmp_lt_u32_e64 s[60:61], v28, s94                        // 000000006C80: D0C9003C 0000BD1C
	s_nop 1                                                    // 000000006C88: BF800001
	v_cndmask_b32_e64 v48, v151, v48, s[60:61]                 // 000000006C8C: D1000030 00F26197
	v_cndmask_b32_e64 v49, v151, v49, s[60:61]                 // 000000006C94: D1000031 00F26397
	v_cndmask_b32_e64 v50, v151, v50, s[60:61]                 // 000000006C9C: D1000032 00F26597
	v_cndmask_b32_e64 v51, v151, v51, s[60:61]                 // 000000006CA4: D1000033 00F26797
	s_branch label_0BC5                                        // 000000006CAC: BF820013

0000000000006cb0 <label_0BB2>:
	s_mov_b32 s60, 64                                          // 000000006CB0: BEBC00C0
	v_and_b32_e32 v28, 15, v0                                  // 000000006CB4: 2638008F
	v_add_u32_e64 v28, v28, s60                                // 000000006CB8: D134001C 0000791C
	v_mul_i32_i24_e64 v29, s46, 16                             // 000000006CC0: D106001D 0001202E
	v_add_u32_e32 v28, v28, v29                                // 000000006CC8: 68383B1C
	v_cmp_lt_u32_e64 s[60:61], v28, s94                        // 000000006CCC: D0C9003C 0000BD1C
	s_nop 1                                                    // 000000006CD4: BF800001
	v_cndmask_b32_e64 v52, v151, v52, s[60:61]                 // 000000006CD8: D1000034 00F26997
	v_cndmask_b32_e64 v53, v151, v53, s[60:61]                 // 000000006CE0: D1000035 00F26B97
	v_cndmask_b32_e64 v54, v151, v54, s[60:61]                 // 000000006CE8: D1000036 00F26D97
	v_cndmask_b32_e64 v55, v151, v55, s[60:61]                 // 000000006CF0: D1000037 00F26F97
	s_branch label_0BDE                                        // 000000006CF8: BF820019

0000000000006cfc <label_0BC5>:
	v_mov_b32_e32 v52, v151                                    // 000000006CFC: 7E680397
	v_mov_b32_e32 v53, v151                                    // 000000006D00: 7E6A0397
	v_mov_b32_e32 v54, v151                                    // 000000006D04: 7E6C0397
	v_mov_b32_e32 v55, v151                                    // 000000006D08: 7E6E0397
	s_branch label_0BDE                                        // 000000006D0C: BF820014

0000000000006d10 <label_0BCA>:
	s_mov_b32 s60, 0x80                                        // 000000006D10: BEBC00FF 00000080
	v_and_b32_e32 v28, 15, v0                                  // 000000006D18: 2638008F
	v_add_u32_e64 v28, v28, s60                                // 000000006D1C: D134001C 0000791C
	v_mul_i32_i24_e64 v29, s46, 16                             // 000000006D24: D106001D 0001202E
	v_add_u32_e32 v28, v28, v29                                // 000000006D2C: 68383B1C
	v_cmp_lt_u32_e64 s[60:61], v28, s94                        // 000000006D30: D0C9003C 0000BD1C
	s_nop 1                                                    // 000000006D38: BF800001
	v_cndmask_b32_e64 v56, v151, v56, s[60:61]                 // 000000006D3C: D1000038 00F27197
	v_cndmask_b32_e64 v57, v151, v57, s[60:61]                 // 000000006D44: D1000039 00F27397
	v_cndmask_b32_e64 v58, v151, v58, s[60:61]                 // 000000006D4C: D100003A 00F27597
	v_cndmask_b32_e64 v59, v151, v59, s[60:61]                 // 000000006D54: D100003B 00F27797
	s_branch label_0BE3                                        // 000000006D5C: BF820005

0000000000006d60 <label_0BDE>:
	v_mov_b32_e32 v56, v151                                    // 000000006D60: 7E700397
	v_mov_b32_e32 v57, v151                                    // 000000006D64: 7E720397
	v_mov_b32_e32 v58, v151                                    // 000000006D68: 7E740397
	v_mov_b32_e32 v59, v151                                    // 000000006D6C: 7E760397
	s_branch label_0BE3                                        // 000000006D70: BF820000

0000000000006d74 <label_0BE3>:
	s_waitcnt lgkmcnt(8)                                       // 000000006D74: BF8CC87F
	s_barrier                                                  // 000000006D78: BF8A0000
	v_mfma_f32_16x16x16_bf16 v[72:75], v[92:93], a[96:97], 0   // 000000006D7C: D3E10048 1202C15C
	ds_read_b128 a[144:147], v12 offset:4352                   // 000000006D84: DBFE1100 9000000C
	ds_read_b128 a[148:151], v12 offset:4864                   // 000000006D8C: DBFE1300 9400000C
	v_mfma_f32_16x16x16_bf16 v[72:75], v[94:95], a[98:99], v[72:75]// 000000006D94: D3E10048 1522C55E
	v_fma_f32 v48, v48, s57, -v124                             // 000000006D9C: D1CB0030 85F07330
	v_fma_f32 v49, v49, s57, -v125                             // 000000006DA4: D1CB0031 85F47331
	v_fma_f32 v50, v50, s57, -v126                             // 000000006DAC: D1CB0032 85F87332
	v_mfma_f32_16x16x16_bf16 v[72:75], v[96:97], a[100:101], v[72:75]// 000000006DB4: D3E10048 1522C960
	v_fma_f32 v51, v51, s57, -v127                             // 000000006DBC: D1CB0033 85FC7333
	v_fma_f32 v52, v52, s57, -v124                             // 000000006DC4: D1CB0034 85F07334
	v_fma_f32 v53, v53, s57, -v125                             // 000000006DCC: D1CB0035 85F47335
	v_mfma_f32_16x16x16_bf16 v[72:75], v[98:99], a[102:103], v[72:75]// 000000006DD4: D3E10048 1522CD62
	v_fma_f32 v54, v54, s57, -v126                             // 000000006DDC: D1CB0036 85F87336
	v_fma_f32 v55, v55, s57, -v127                             // 000000006DE4: D1CB0037 85FC7337
	v_fma_f32 v56, v56, s57, -v124                             // 000000006DEC: D1CB0038 85F07338
	v_mfma_f32_16x16x16_bf16 v[72:75], v[100:101], a[104:105], v[72:75]// 000000006DF4: D3E10048 1522D164
	ds_read_b128 a[152:155], v12 offset:6528                   // 000000006DFC: DBFE1980 9800000C
	ds_read_b128 a[156:159], v12 offset:7040                   // 000000006E04: DBFE1B80 9C00000C
	v_mfma_f32_16x16x16_bf16 v[72:75], v[102:103], a[106:107], v[72:75]// 000000006E0C: D3E10048 1522D566
	v_fma_f32 v57, v57, s57, -v125                             // 000000006E14: D1CB0039 85F47339
	v_fma_f32 v58, v58, s57, -v126                             // 000000006E1C: D1CB003A 85F8733A
	v_fma_f32 v59, v59, s57, -v127                             // 000000006E24: D1CB003B 85FC733B
	v_mfma_f32_16x16x16_bf16 v[72:75], v[104:105], a[108:109], v[72:75]// 000000006E2C: D3E10048 1522D968
	v_exp_f32_e32 v48, v48                                     // 000000006E34: 7E604130
	v_mfma_f32_16x16x16_bf16 v[72:75], v[106:107], a[110:111], v[72:75]// 000000006E38: D3E10048 1522DD6A
	v_exp_f32_e32 v49, v49                                     // 000000006E40: 7E624131
	v_mfma_f32_16x16x16_bf16 v[76:79], v[92:93], a[112:113], 0 // 000000006E44: D3E1004C 1202E15C
	ds_read_b64 v[136:137], v19 offset:24320                   // 000000006E4C: D8EC5F00 88000013
	ds_read_b64 v[138:139], v19 offset:26368                   // 000000006E54: D8EC6700 8A000013
	v_mfma_f32_16x16x16_bf16 v[76:79], v[94:95], a[114:115], v[76:79]// 000000006E5C: D3E1004C 1532E55E
	v_exp_f32_e32 v50, v50                                     // 000000006E64: 7E644132
	v_mfma_f32_16x16x16_bf16 v[76:79], v[96:97], a[116:117], v[76:79]// 000000006E68: D3E1004C 1532E960
	ds_read_b64 v[140:141], v19 offset:28416                   // 000000006E70: D8EC6F00 8C000013
	ds_read_b64 v[142:143], v19 offset:30464                   // 000000006E78: D8EC7700 8E000013
	v_mfma_f32_16x16x16_bf16 v[76:79], v[98:99], a[118:119], v[76:79]// 000000006E80: D3E1004C 1532ED62
	v_exp_f32_e32 v51, v51                                     // 000000006E88: 7E664133
	v_mfma_f32_16x16x16_bf16 v[76:79], v[100:101], a[120:121], v[76:79]// 000000006E8C: D3E1004C 1532F164
	v_exp_f32_e32 v52, v52                                     // 000000006E94: 7E684134
	v_mfma_f32_16x16x16_bf16 v[76:79], v[102:103], a[122:123], v[76:79]// 000000006E98: D3E1004C 1532F566
	v_exp_f32_e32 v53, v53                                     // 000000006EA0: 7E6A4135
	v_mfma_f32_16x16x16_bf16 v[76:79], v[104:105], a[124:125], v[76:79]// 000000006EA4: D3E1004C 1532F968
	v_exp_f32_e32 v54, v54                                     // 000000006EAC: 7E6C4136
	v_mfma_f32_16x16x16_bf16 v[76:79], v[106:107], a[126:127], v[76:79]// 000000006EB0: D3E1004C 1532FD6A
	v_exp_f32_e32 v55, v55                                     // 000000006EB8: 7E6E4137
	v_mfma_f32_16x16x16_bf16 v[80:83], v[92:93], a[128:129], 0 // 000000006EBC: D3E10050 1203015C
	v_exp_f32_e32 v56, v56                                     // 000000006EC4: 7E704138
	v_mfma_f32_16x16x16_bf16 v[80:83], v[94:95], a[130:131], v[80:83]// 000000006EC8: D3E10050 1543055E
	v_exp_f32_e32 v57, v57                                     // 000000006ED0: 7E724139
	v_mfma_f32_16x16x16_bf16 v[80:83], v[96:97], a[132:133], v[80:83]// 000000006ED4: D3E10050 15430960
	v_exp_f32_e32 v58, v58                                     // 000000006EDC: 7E74413A
	v_mfma_f32_16x16x16_bf16 v[80:83], v[98:99], a[134:135], v[80:83]// 000000006EE0: D3E10050 15430D62
	v_exp_f32_e32 v59, v59                                     // 000000006EE8: 7E76413B
	v_mfma_f32_16x16x16_bf16 v[80:83], v[100:101], a[136:137], v[80:83]// 000000006EEC: D3E10050 15431164
	v_cmp_u_f32_e64 s[74:75], v48, v48                         // 000000006EF4: D048004A 00026130
	v_bfe_u32 v248, v48, 16, 1                                 // 000000006EFC: D1C800F8 02052130
	v_add3_u32 v248, v48, v248, v251                           // 000000006F04: D1FF00F8 07EFF130
	v_cndmask_b32_e64 v28, v248, v250, s[74:75]                // 000000006F0C: D100001C 012BF5F8
	v_lshrrev_b32_e32 v28, 16, v28                             // 000000006F14: 20383890
	v_cmp_u_f32_e64 s[74:75], v49, v49                         // 000000006F18: D048004A 00026331
	v_bfe_u32 v248, v49, 16, 1                                 // 000000006F20: D1C800F8 02052131
	v_add3_u32 v248, v49, v248, v251                           // 000000006F28: D1FF00F8 07EFF131
	v_cndmask_b32_e64 v29, v248, v250, s[74:75]                // 000000006F30: D100001D 012BF5F8
	v_and_or_b32 v144, v29, v249, v28                          // 000000006F38: D2010090 0473F31D
	v_cmp_u_f32_e64 s[74:75], v50, v50                         // 000000006F40: D048004A 00026532
	v_bfe_u32 v248, v50, 16, 1                                 // 000000006F48: D1C800F8 02052132
	v_add3_u32 v248, v50, v248, v251                           // 000000006F50: D1FF00F8 07EFF132
	v_cndmask_b32_e64 v28, v248, v250, s[74:75]                // 000000006F58: D100001C 012BF5F8
	v_lshrrev_b32_e32 v28, 16, v28                             // 000000006F60: 20383890
	v_cmp_u_f32_e64 s[74:75], v51, v51                         // 000000006F64: D048004A 00026733
	v_bfe_u32 v248, v51, 16, 1                                 // 000000006F6C: D1C800F8 02052133
	v_add3_u32 v248, v51, v248, v251                           // 000000006F74: D1FF00F8 07EFF133
	v_cndmask_b32_e64 v29, v248, v250, s[74:75]                // 000000006F7C: D100001D 012BF5F8
	v_and_or_b32 v145, v29, v249, v28                          // 000000006F84: D2010091 0473F31D
	v_cmp_u_f32_e64 s[74:75], v52, v52                         // 000000006F8C: D048004A 00026934
	v_bfe_u32 v248, v52, 16, 1                                 // 000000006F94: D1C800F8 02052134
	v_add3_u32 v248, v52, v248, v251                           // 000000006F9C: D1FF00F8 07EFF134
	v_cndmask_b32_e64 v28, v248, v250, s[74:75]                // 000000006FA4: D100001C 012BF5F8
	v_lshrrev_b32_e32 v28, 16, v28                             // 000000006FAC: 20383890
	v_cmp_u_f32_e64 s[74:75], v53, v53                         // 000000006FB0: D048004A 00026B35
	v_bfe_u32 v248, v53, 16, 1                                 // 000000006FB8: D1C800F8 02052135
	v_add3_u32 v248, v53, v248, v251                           // 000000006FC0: D1FF00F8 07EFF135
	v_cndmask_b32_e64 v29, v248, v250, s[74:75]                // 000000006FC8: D100001D 012BF5F8
	v_and_or_b32 v146, v29, v249, v28                          // 000000006FD0: D2010092 0473F31D
	v_mfma_f32_16x16x16_bf16 v[80:83], v[102:103], a[138:139], v[80:83]// 000000006FD8: D3E10050 15431566
	v_cmp_u_f32_e64 s[74:75], v54, v54                         // 000000006FE0: D048004A 00026D36
	v_bfe_u32 v248, v54, 16, 1                                 // 000000006FE8: D1C800F8 02052136
	v_add3_u32 v248, v54, v248, v251                           // 000000006FF0: D1FF00F8 07EFF136
	v_cndmask_b32_e64 v28, v248, v250, s[74:75]                // 000000006FF8: D100001C 012BF5F8
	v_lshrrev_b32_e32 v28, 16, v28                             // 000000007000: 20383890
	v_cmp_u_f32_e64 s[74:75], v55, v55                         // 000000007004: D048004A 00026F37
	v_bfe_u32 v248, v55, 16, 1                                 // 00000000700C: D1C800F8 02052137
	v_add3_u32 v248, v55, v248, v251                           // 000000007014: D1FF00F8 07EFF137
	v_cndmask_b32_e64 v29, v248, v250, s[74:75]                // 00000000701C: D100001D 012BF5F8
	v_and_or_b32 v147, v29, v249, v28                          // 000000007024: D2010093 0473F31D
	v_cmp_u_f32_e64 s[74:75], v56, v56                         // 00000000702C: D048004A 00027138
	v_bfe_u32 v248, v56, 16, 1                                 // 000000007034: D1C800F8 02052138
	v_add3_u32 v248, v56, v248, v251                           // 00000000703C: D1FF00F8 07EFF138
	v_cndmask_b32_e64 v28, v248, v250, s[74:75]                // 000000007044: D100001C 012BF5F8
	v_lshrrev_b32_e32 v28, 16, v28                             // 00000000704C: 20383890
	v_cmp_u_f32_e64 s[74:75], v57, v57                         // 000000007050: D048004A 00027339
	v_bfe_u32 v248, v57, 16, 1                                 // 000000007058: D1C800F8 02052139
	v_add3_u32 v248, v57, v248, v251                           // 000000007060: D1FF00F8 07EFF139
	v_cndmask_b32_e64 v29, v248, v250, s[74:75]                // 000000007068: D100001D 012BF5F8
	v_and_or_b32 v148, v29, v249, v28                          // 000000007070: D2010094 0473F31D
	v_cmp_u_f32_e64 s[74:75], v58, v58                         // 000000007078: D048004A 0002753A
	v_bfe_u32 v248, v58, 16, 1                                 // 000000007080: D1C800F8 0205213A
	v_add3_u32 v248, v58, v248, v251                           // 000000007088: D1FF00F8 07EFF13A
	v_cndmask_b32_e64 v28, v248, v250, s[74:75]                // 000000007090: D100001C 012BF5F8
	v_lshrrev_b32_e32 v28, 16, v28                             // 000000007098: 20383890
	v_cmp_u_f32_e64 s[74:75], v59, v59                         // 00000000709C: D048004A 0002773B
	v_bfe_u32 v248, v59, 16, 1                                 // 0000000070A4: D1C800F8 0205213B
	v_add3_u32 v248, v59, v248, v251                           // 0000000070AC: D1FF00F8 07EFF13B
	v_cndmask_b32_e64 v29, v248, v250, s[74:75]                // 0000000070B4: D100001D 012BF5F8
	v_and_or_b32 v149, v29, v249, v28                          // 0000000070BC: D2010095 0473F31D
	v_mfma_f32_16x16x16_bf16 v[80:83], v[104:105], a[140:141], v[80:83]// 0000000070C4: D3E10050 15431968
	v_add_u32_e32 v7, s66, v7                                  // 0000000070CC: 680E0E42
	v_add_u32_e32 v8, s66, v8                                  // 0000000070D0: 68101042
	v_mfma_f32_16x16x16_bf16 v[80:83], v[106:107], a[142:143], v[80:83]// 0000000070D4: D3E10050 15431D6A
	s_waitcnt lgkmcnt(0)                                       // 0000000070DC: BF8CC07F
	s_barrier                                                  // 0000000070E0: BF8A0000
	v_mfma_f32_16x16x16_bf16 v[152:155], v[108:109], v[144:145], v[152:155]// 0000000070E4: D3E10098 0663216C
	v_subrev_f32_dpp v72, v150, v72 quad_perm:[0,0,0,0] row_mask:0xf bank_mask:0xf// 0000000070EC: 069090FA FF000096
	v_subrev_f32_dpp v73, v150, v73 quad_perm:[1,1,1,1] row_mask:0xf bank_mask:0xf// 0000000070F4: 069292FA FF005596
	v_subrev_f32_dpp v74, v150, v74 quad_perm:[2,2,2,2] row_mask:0xf bank_mask:0xf// 0000000070FC: 069494FA FF00AA96
	v_mfma_f32_16x16x16_bf16 v[156:159], v[110:111], v[144:145], v[156:159]// 000000007104: D3E1009C 0673216E
	v_subrev_f32_dpp v75, v150, v75 quad_perm:[3,3,3,3] row_mask:0xf bank_mask:0xf// 00000000710C: 069696FA FF00FF96
	v_subrev_f32_dpp v76, v150, v76 quad_perm:[0,0,0,0] row_mask:0xf bank_mask:0xf// 000000007114: 069898FA FF000096
	v_subrev_f32_dpp v77, v150, v77 quad_perm:[1,1,1,1] row_mask:0xf bank_mask:0xf// 00000000711C: 069A9AFA FF005596
	v_mfma_f32_16x16x16_bf16 v[160:163], v[112:113], v[144:145], v[160:163]// 000000007124: D3E100A0 06832170
	v_mul_f32_e32 v72, v48, v72                                // 00000000712C: 0A909130
	v_mul_f32_e32 v73, v49, v73                                // 000000007130: 0A929331
	v_mul_f32_e32 v74, v50, v74                                // 000000007134: 0A949532
	v_mfma_f32_16x16x16_bf16 v[164:167], v[114:115], v[144:145], v[164:167]// 000000007138: D3E100A4 06932172
	v_mul_f32_e32 v75, v51, v75                                // 000000007140: 0A969733
	v_mul_f32_e32 v76, v52, v76                                // 000000007144: 0A989934
	v_mul_f32_e32 v77, v53, v77                                // 000000007148: 0A9A9B35
	v_mfma_f32_16x16x16_bf16 v[168:171], v[116:117], v[144:145], v[168:171]// 00000000714C: D3E100A8 06A32174
	v_cmp_u_f32_e64 s[74:75], v72, v72                         // 000000007154: D048004A 00029148
	v_bfe_u32 v248, v72, 16, 1                                 // 00000000715C: D1C800F8 02052148
	v_add3_u32 v248, v72, v248, v251                           // 000000007164: D1FF00F8 07EFF148
	v_cndmask_b32_e64 v28, v248, v250, s[74:75]                // 00000000716C: D100001C 012BF5F8
	v_lshrrev_b32_e32 v28, 16, v28                             // 000000007174: 20383890
	v_cmp_u_f32_e64 s[74:75], v73, v73                         // 000000007178: D048004A 00029349
	v_bfe_u32 v248, v73, 16, 1                                 // 000000007180: D1C800F8 02052149
	v_add3_u32 v248, v73, v248, v251                           // 000000007188: D1FF00F8 07EFF149
	v_cndmask_b32_e64 v29, v248, v250, s[74:75]                // 000000007190: D100001D 012BF5F8
	v_and_or_b32 v72, v29, v249, v28                           // 000000007198: D2010048 0473F31D
	v_cmp_u_f32_e64 s[74:75], v74, v74                         // 0000000071A0: D048004A 0002954A
	v_bfe_u32 v248, v74, 16, 1                                 // 0000000071A8: D1C800F8 0205214A
	v_add3_u32 v248, v74, v248, v251                           // 0000000071B0: D1FF00F8 07EFF14A
	v_cndmask_b32_e64 v28, v248, v250, s[74:75]                // 0000000071B8: D100001C 012BF5F8
	v_lshrrev_b32_e32 v28, 16, v28                             // 0000000071C0: 20383890
	v_cmp_u_f32_e64 s[74:75], v75, v75                         // 0000000071C4: D048004A 0002974B
	v_bfe_u32 v248, v75, 16, 1                                 // 0000000071CC: D1C800F8 0205214B
	v_add3_u32 v248, v75, v248, v251                           // 0000000071D4: D1FF00F8 07EFF14B
	v_cndmask_b32_e64 v29, v248, v250, s[74:75]                // 0000000071DC: D100001D 012BF5F8
	v_and_or_b32 v73, v29, v249, v28                           // 0000000071E4: D2010049 0473F31D
	v_cmp_u_f32_e64 s[74:75], v76, v76                         // 0000000071EC: D048004A 0002994C
	v_bfe_u32 v248, v76, 16, 1                                 // 0000000071F4: D1C800F8 0205214C
	v_add3_u32 v248, v76, v248, v251                           // 0000000071FC: D1FF00F8 07EFF14C
	v_cndmask_b32_e64 v28, v248, v250, s[74:75]                // 000000007204: D100001C 012BF5F8
	v_lshrrev_b32_e32 v28, 16, v28                             // 00000000720C: 20383890
	v_cmp_u_f32_e64 s[74:75], v77, v77                         // 000000007210: D048004A 00029B4D
	v_bfe_u32 v248, v77, 16, 1                                 // 000000007218: D1C800F8 0205214D
	v_add3_u32 v248, v77, v248, v251                           // 000000007220: D1FF00F8 07EFF14D
	v_cndmask_b32_e64 v29, v248, v250, s[74:75]                // 000000007228: D100001D 012BF5F8
	v_and_or_b32 v74, v29, v249, v28                           // 000000007230: D201004A 0473F31D
	v_mfma_f32_16x16x16_bf16 v[172:175], v[118:119], v[144:145], v[172:175]// 000000007238: D3E100AC 06B32176
	v_mov_b32_dpp v16, v72 quad_perm:[1,0,3,2] row_mask:0xf bank_mask:0xf// 000000007240: 7E2002FA FF00B148
	v_perm_b32 v48, v16, v72, v15                              // 000000007248: D1ED0030 043E9110
	v_mov_b32_dpp v16, v73 quad_perm:[1,0,3,2] row_mask:0xf bank_mask:0xf// 000000007250: 7E2002FA FF00B149
	v_mfma_f32_16x16x16_bf16 v[176:179], v[120:121], v[144:145], v[176:179]// 000000007258: D3E100B0 06C32178
	v_perm_b32 v49, v16, v73, v15                              // 000000007260: D1ED0031 043E9310
	v_mov_b32_dpp v16, v74 quad_perm:[1,0,3,2] row_mask:0xf bank_mask:0xf// 000000007268: 7E2002FA FF00B14A
	v_perm_b32 v50, v16, v74, v15                              // 000000007270: D1ED0032 043E9510
	v_mfma_f32_16x16x16_bf16 v[180:183], v[122:123], v[144:145], v[180:183]// 000000007278: D3E100B4 06D3217A
	ds_write_b32 v18, v48 offset:17408                         // 000000007280: D81A4400 00003012
	v_mfma_f32_16x16x16_bf16 v[184:187], v[108:109], v[146:147], v[184:187]// 000000007288: D3E100B8 06E3256C
	v_subrev_f32_dpp v78, v150, v78 quad_perm:[2,2,2,2] row_mask:0xf bank_mask:0xf// 000000007290: 069C9CFA FF00AA96
	v_subrev_f32_dpp v79, v150, v79 quad_perm:[3,3,3,3] row_mask:0xf bank_mask:0xf// 000000007298: 069E9EFA FF00FF96
	v_subrev_f32_dpp v80, v150, v80 quad_perm:[0,0,0,0] row_mask:0xf bank_mask:0xf// 0000000072A0: 06A0A0FA FF000096
	v_mfma_f32_16x16x16_bf16 v[188:191], v[110:111], v[146:147], v[188:191]// 0000000072A8: D3E100BC 06F3256E
	ds_write_b32 v18, v49 offset:17952                         // 0000000072B0: D81A4620 00003112
	v_mfma_f32_16x16x16_bf16 v[192:195], v[112:113], v[146:147], v[192:195]// 0000000072B8: D3E100C0 07032570
	v_subrev_f32_dpp v81, v150, v81 quad_perm:[1,1,1,1] row_mask:0xf bank_mask:0xf// 0000000072C0: 06A2A2FA FF005596
	v_subrev_f32_dpp v82, v150, v82 quad_perm:[2,2,2,2] row_mask:0xf bank_mask:0xf// 0000000072C8: 06A4A4FA FF00AA96
	v_subrev_f32_dpp v83, v150, v83 quad_perm:[3,3,3,3] row_mask:0xf bank_mask:0xf// 0000000072D0: 06A6A6FA FF00FF96
	v_mfma_f32_16x16x16_bf16 v[196:199], v[114:115], v[146:147], v[196:199]// 0000000072D8: D3E100C4 07132572
	ds_write_b32 v18, v50 offset:19712                         // 0000000072E0: D81A4D00 00003212
	v_mfma_f32_16x16x16_bf16 v[200:203], v[116:117], v[146:147], v[200:203]// 0000000072E8: D3E100C8 07232574
	v_mul_f32_e32 v78, v54, v78                                // 0000000072F0: 0A9C9D36
	v_mul_f32_e32 v79, v55, v79                                // 0000000072F4: 0A9E9F37
	v_mul_f32_e32 v80, v56, v80                                // 0000000072F8: 0AA0A138
	v_mfma_f32_16x16x16_bf16 v[204:207], v[118:119], v[146:147], v[204:207]// 0000000072FC: D3E100CC 07332576
	v_mul_f32_e32 v81, v57, v81                                // 000000007304: 0AA2A339
	v_mul_f32_e32 v82, v58, v82                                // 000000007308: 0AA4A53A
	v_mul_f32_e32 v83, v59, v83                                // 00000000730C: 0AA6A73B
	v_mfma_f32_16x16x16_bf16 v[208:211], v[120:121], v[146:147], v[208:211]// 000000007310: D3E100D0 07432578
	v_cmp_u_f32_e64 s[74:75], v78, v78                         // 000000007318: D048004A 00029D4E
	v_bfe_u32 v248, v78, 16, 1                                 // 000000007320: D1C800F8 0205214E
	v_add3_u32 v248, v78, v248, v251                           // 000000007328: D1FF00F8 07EFF14E
	v_cndmask_b32_e64 v28, v248, v250, s[74:75]                // 000000007330: D100001C 012BF5F8
	v_lshrrev_b32_e32 v28, 16, v28                             // 000000007338: 20383890
	v_cmp_u_f32_e64 s[74:75], v79, v79                         // 00000000733C: D048004A 00029F4F
	v_bfe_u32 v248, v79, 16, 1                                 // 000000007344: D1C800F8 0205214F
	v_add3_u32 v248, v79, v248, v251                           // 00000000734C: D1FF00F8 07EFF14F
	v_cndmask_b32_e64 v29, v248, v250, s[74:75]                // 000000007354: D100001D 012BF5F8
	v_and_or_b32 v75, v29, v249, v28                           // 00000000735C: D201004B 0473F31D
	v_cmp_u_f32_e64 s[74:75], v80, v80                         // 000000007364: D048004A 0002A150
	v_bfe_u32 v248, v80, 16, 1                                 // 00000000736C: D1C800F8 02052150
	v_add3_u32 v248, v80, v248, v251                           // 000000007374: D1FF00F8 07EFF150
	v_cndmask_b32_e64 v28, v248, v250, s[74:75]                // 00000000737C: D100001C 012BF5F8
	v_lshrrev_b32_e32 v28, 16, v28                             // 000000007384: 20383890
	v_cmp_u_f32_e64 s[74:75], v81, v81                         // 000000007388: D048004A 0002A351
	v_bfe_u32 v248, v81, 16, 1                                 // 000000007390: D1C800F8 02052151
	v_add3_u32 v248, v81, v248, v251                           // 000000007398: D1FF00F8 07EFF151
	v_cndmask_b32_e64 v29, v248, v250, s[74:75]                // 0000000073A0: D100001D 012BF5F8
	v_and_or_b32 v76, v29, v249, v28                           // 0000000073A8: D201004C 0473F31D
	v_cmp_u_f32_e64 s[74:75], v82, v82                         // 0000000073B0: D048004A 0002A552
	v_bfe_u32 v248, v82, 16, 1                                 // 0000000073B8: D1C800F8 02052152
	v_add3_u32 v248, v82, v248, v251                           // 0000000073C0: D1FF00F8 07EFF152
	v_cndmask_b32_e64 v28, v248, v250, s[74:75]                // 0000000073C8: D100001C 012BF5F8
	v_lshrrev_b32_e32 v28, 16, v28                             // 0000000073D0: 20383890
	v_cmp_u_f32_e64 s[74:75], v83, v83                         // 0000000073D4: D048004A 0002A753
	v_bfe_u32 v248, v83, 16, 1                                 // 0000000073DC: D1C800F8 02052153
	v_add3_u32 v248, v83, v248, v251                           // 0000000073E4: D1FF00F8 07EFF153
	v_cndmask_b32_e64 v29, v248, v250, s[74:75]                // 0000000073EC: D100001D 012BF5F8
	v_and_or_b32 v77, v29, v249, v28                           // 0000000073F4: D201004D 0473F31D
	v_mfma_f32_16x16x16_bf16 v[212:215], v[122:123], v[146:147], v[212:215]// 0000000073FC: D3E100D4 0753257A
	v_mov_b32_dpp v16, v75 quad_perm:[1,0,3,2] row_mask:0xf bank_mask:0xf// 000000007404: 7E2002FA FF00B14B
	v_perm_b32 v51, v16, v75, v15                              // 00000000740C: D1ED0033 043E9710
	v_mov_b32_dpp v16, v76 quad_perm:[1,0,3,2] row_mask:0xf bank_mask:0xf// 000000007414: 7E2002FA FF00B14C
	v_mfma_f32_16x16x16_bf16 v[216:219], v[108:109], v[148:149], v[216:219]// 00000000741C: D3E100D8 0763296C
	v_perm_b32 v52, v16, v76, v15                              // 000000007424: D1ED0034 043E9910
	v_mov_b32_dpp v16, v77 quad_perm:[1,0,3,2] row_mask:0xf bank_mask:0xf// 00000000742C: 7E2002FA FF00B14D
	v_perm_b32 v53, v16, v77, v15                              // 000000007434: D1ED0035 043E9B10
	v_mfma_f32_16x16x16_bf16 v[220:223], v[110:111], v[148:149], v[220:223]// 00000000743C: D3E100DC 0773296E
	ds_write_b32 v18, v51 offset:20256                         // 000000007444: D81A4F20 00003312
	v_mfma_f32_16x16x16_bf16 v[224:227], v[112:113], v[148:149], v[224:227]// 00000000744C: D3E100E0 07832970
	v_mfma_f32_16x16x16_bf16 v[228:231], v[114:115], v[148:149], v[228:231]// 000000007454: D3E100E4 07932972
	ds_write_b32 v18, v52 offset:22016                         // 00000000745C: D81A5600 00003412
	ds_write_b32 v18, v53 offset:22560                         // 000000007464: D81A5820 00003512
	v_mfma_f32_16x16x16_bf16 v[232:235], v[116:117], v[148:149], v[232:235]// 00000000746C: D3E100E8 07A32974
	v_mfma_f32_16x16x16_bf16 v[236:239], v[118:119], v[148:149], v[236:239]// 000000007474: D3E100EC 07B32976
	ds_write_b32 v13, v84 offset:4352                          // 00000000747C: D81A1100 0000540D
	ds_write_b32 v13, v85 offset:5408                          // 000000007484: D81A1520 0000550D
	v_mfma_f32_16x16x16_bf16 v[240:243], v[120:121], v[148:149], v[240:243]// 00000000748C: D3E100F0 07C32978
	s_nop 0                                                    // 000000007494: BF800000
	s_nop 0                                                    // 000000007498: BF800000
	s_nop 0                                                    // 00000000749C: BF800000
	v_mfma_f32_16x16x16_bf16 v[244:247], v[122:123], v[148:149], v[244:247]// 0000000074A0: D3E100F4 07D3297A
	ds_write_b32 v13, v86 offset:4480                          // 0000000074A8: D81A1180 0000560D
	ds_write_b32 v13, v87 offset:5536                          // 0000000074B0: D81A15A0 0000570D
	s_barrier                                                  // 0000000074B8: BF8A0000
	v_mfma_f32_16x16x16_bf16 a[160:163], a[144:145], v[72:73], a[160:163]// 0000000074BC: D3E180A0 0E829190
	buffer_atomic_add_f32 v136, v7, s[32:35], 0 offen          // 0000000074C4: E1341000 80088807
	v_mfma_f32_16x16x16_bf16 a[164:167], a[146:147], v[72:73], a[164:167]// 0000000074CC: D3E180A4 0E929192
	ds_read_b32 v124, v21 offset:51200                         // 0000000074D4: D86CC800 7C000015
	ds_read_b32 v150, v21 offset:51456                         // 0000000074DC: D86CC900 96000015
	v_mfma_f32_16x16x16_bf16 a[168:171], a[148:149], v[72:73], a[168:171]// 0000000074E4: D3E180A8 0EA29194
	s_waitcnt lgkmcnt(6)                                       // 0000000074EC: BF8CC67F
	s_barrier                                                  // 0000000074F0: BF8A0000
	v_mfma_f32_16x16x16_bf16 a[172:175], a[150:151], v[72:73], a[172:175]// 0000000074F4: D3E180AC 0EB29196
	ds_read_b128 v[48:51], v17 offset:17408                    // 0000000074FC: D9FE4400 30000011
	v_mfma_f32_16x16x16_bf16 a[176:179], a[152:153], v[72:73], a[176:179]// 000000007504: D3E180B0 0EC29198
	v_mfma_f32_16x16x16_bf16 a[180:183], a[154:155], v[72:73], a[180:183]// 00000000750C: D3E180B4 0ED2919A
	ds_read_b128 v[52:55], v17 offset:18560                    // 000000007514: D9FE4880 34000011
	v_mfma_f32_16x16x16_bf16 a[184:187], a[156:157], v[72:73], a[184:187]// 00000000751C: D3E180B8 0EE2919C
	buffer_atomic_add_f32 v137, v8, s[32:35], 0 offen          // 000000007524: E1341000 80088908
	v_mfma_f32_16x16x16_bf16 a[188:191], a[158:159], v[72:73], a[188:191]// 00000000752C: D3E180BC 0EF2919E
	ds_read_b128 v[56:59], v17 offset:19712                    // 000000007534: D9FE4D00 38000011
	v_mfma_f32_16x16x16_bf16 a[192:195], a[144:145], v[74:75], a[192:195]// 00000000753C: D3E180C0 0F029590
	v_mfma_f32_16x16x16_bf16 a[196:199], a[146:147], v[74:75], a[196:199]// 000000007544: D3E180C4 0F129592
	ds_read_b128 v[60:63], v17 offset:20864                    // 00000000754C: D9FE5180 3C000011
	v_mfma_f32_16x16x16_bf16 a[200:203], a[148:149], v[74:75], a[200:203]// 000000007554: D3E180C8 0F229594
	v_mfma_f32_16x16x16_bf16 a[204:207], a[150:151], v[74:75], a[204:207]// 00000000755C: D3E180CC 0F329596
	ds_read_b128 v[64:67], v17 offset:22016                    // 000000007564: D9FE5600 40000011
	v_mfma_f32_16x16x16_bf16 a[208:211], a[152:153], v[74:75], a[208:211]// 00000000756C: D3E180D0 0F429598
	buffer_atomic_add_f32 v138, v7, s[32:35], 0 offen offset:128// 000000007574: E1341080 80088A07
	v_mfma_f32_16x16x16_bf16 a[212:215], a[154:155], v[74:75], a[212:215]// 00000000757C: D3E180D4 0F52959A
	ds_read_b128 v[68:71], v17 offset:23168                    // 000000007584: D9FE5A80 44000011
	v_mfma_f32_16x16x16_bf16 a[216:219], a[156:157], v[74:75], a[216:219]// 00000000758C: D3E180D8 0F62959C
	v_mfma_f32_16x16x16_bf16 a[220:223], a[158:159], v[74:75], a[220:223]// 000000007594: D3E180DC 0F72959E
	ds_write_b32 v13, v88 offset:13056                         // 00000000759C: D81A3300 0000580D
	v_mfma_f32_16x16x16_bf16 a[224:227], a[144:145], v[76:77], a[224:227]// 0000000075A4: D3E180E0 0F829990
	v_mfma_f32_16x16x16_bf16 a[228:231], a[146:147], v[76:77], a[228:231]// 0000000075AC: D3E180E4 0F929992
	ds_write_b32 v13, v89 offset:14112                         // 0000000075B4: D81A3720 0000590D
	v_mfma_f32_16x16x16_bf16 a[232:235], a[148:149], v[76:77], a[232:235]// 0000000075BC: D3E180E8 0FA29994
	buffer_atomic_add_f32 v139, v8, s[32:35], 0 offen offset:128// 0000000075C4: E1341080 80088B08
	v_mfma_f32_16x16x16_bf16 a[236:239], a[150:151], v[76:77], a[236:239]// 0000000075CC: D3E180EC 0FB29996
	ds_write_b32 v13, v90 offset:13184                         // 0000000075D4: D81A3380 00005A0D
	v_mfma_f32_16x16x16_bf16 a[240:243], a[152:153], v[76:77], a[240:243]// 0000000075DC: D3E180F0 0FC29998
	v_mfma_f32_16x16x16_bf16 a[244:247], a[154:155], v[76:77], a[244:247]// 0000000075E4: D3E180F4 0FD2999A
	ds_write_b32 v13, v91 offset:14240                         // 0000000075EC: D81A37A0 00005B0D
	v_mfma_f32_16x16x16_bf16 a[248:251], a[156:157], v[76:77], a[248:251]// 0000000075F4: D3E180F8 0FE2999C
	v_mfma_f32_16x16x16_bf16 a[252:255], a[158:159], v[76:77], a[252:255]// 0000000075FC: D3E180FC 0FF2999E
	s_waitcnt vmcnt(8) lgkmcnt(4)                              // 000000007604: BF8C0478
	s_barrier                                                  // 000000007608: BF8A0000
	v_mfma_f32_16x16x16_bf16 v[128:131], v[48:49], a[48:49], 0 // 00000000760C: D3E10080 12026130
	v_cmp_eq_u32_e32 vcc, v124, v151                           // 000000007614: 7D952F7C
	v_mov_b32_e32 v28, 0                                       // 000000007618: 7E380280
	v_cndmask_b32_e32 v124, v124, v28, vcc                     // 00000000761C: 00F8397C
	v_mul_f32_e32 v124, s48, v124                              // 000000007620: 0AF8F830
	s_nop 0                                                    // 000000007624: BF800000
	v_mfma_f32_16x16x16_bf16 v[128:131], v[50:51], a[52:53], v[128:131]// 000000007628: D3E10080 16026932
	ds_read_b128 a[144:147], v10                               // 000000007630: DBFE0000 9000000A
	v_mov_b32_e32 v36, 0                                       // 000000007638: 7E480280
	s_mov_b64 exec, s[88:89]                                   // 00000000763C: BEFE0158
	buffer_load_dword v36, v1, s[8:11], 0 idxen                // 000000007640: E0502000 80022401
	s_mov_b64 exec, s[86:87]                                   // 000000007648: BEFE0156
	v_mfma_f32_16x16x16_bf16 v[128:131], v[52:53], a[56:57], v[128:131]// 00000000764C: D3E10080 16027134
	v_mfma_f32_16x16x16_bf16 v[128:131], v[54:55], a[60:61], v[128:131]// 000000007654: D3E10080 16027936
	ds_read_b128 a[148:151], v10 offset:512                    // 00000000765C: DBFE0200 9400000A
	v_mov_b32_e32 v37, 0                                       // 000000007664: 7E4A0280
	s_mov_b64 exec, s[88:89]                                   // 000000007668: BEFE0158
	buffer_load_dword v37, v2, s[8:11], 0 idxen                // 00000000766C: E0502000 80022502
	s_mov_b64 exec, s[86:87]                                   // 000000007674: BEFE0156
	v_mfma_f32_16x16x16_bf16 v[128:131], v[56:57], a[64:65], v[128:131]// 000000007678: D3E10080 16028138
	v_perm_b32 v84, v33, v32, s63                              // 000000007680: D1ED0054 00FE4121
	v_perm_b32 v85, v33, v32, s64                              // 000000007688: D1ED0055 01024121
	v_mfma_f32_16x16x16_bf16 v[128:131], v[58:59], a[68:69], v[128:131]// 000000007690: D3E10080 1602893A
	ds_read_b128 a[152:155], v10 offset:2176                   // 000000007698: DBFE0880 9800000A
	v_mov_b32_e32 v38, 0                                       // 0000000076A0: 7E4C0280
	s_mov_b64 exec, s[88:89]                                   // 0000000076A4: BEFE0158
	buffer_load_dword v38, v3, s[8:11], 0 idxen                // 0000000076A8: E0502000 80022603
	s_mov_b64 exec, s[86:87]                                   // 0000000076B0: BEFE0156
	v_mfma_f32_16x16x16_bf16 v[128:131], v[60:61], a[72:73], v[128:131]// 0000000076B4: D3E10080 1602913C
	v_perm_b32 v86, v35, v34, s63                              // 0000000076BC: D1ED0056 00FE4523
	v_perm_b32 v87, v35, v34, s64                              // 0000000076C4: D1ED0057 01024523
	v_mfma_f32_16x16x16_bf16 v[128:131], v[62:63], a[76:77], v[128:131]// 0000000076CC: D3E10080 1602993E
	ds_read_b128 a[156:159], v10 offset:2688                   // 0000000076D4: DBFE0A80 9C00000A
	v_mov_b32_e32 v39, 0                                       // 0000000076DC: 7E4E0280
	s_mov_b64 exec, s[88:89]                                   // 0000000076E0: BEFE0158
	buffer_load_dword v39, v4, s[8:11], 0 idxen                // 0000000076E4: E0502000 80022704
	s_mov_b64 exec, s[86:87]                                   // 0000000076EC: BEFE0156
	v_mfma_f32_16x16x16_bf16 v[128:131], v[64:65], a[80:81], v[128:131]// 0000000076F0: D3E10080 1602A140
	v_perm_b32 v88, v41, v40, s63                              // 0000000076F8: D1ED0058 00FE5129
	v_perm_b32 v89, v41, v40, s64                              // 000000007700: D1ED0059 01025129
	v_mfma_f32_16x16x16_bf16 v[128:131], v[66:67], a[84:85], v[128:131]// 000000007708: D3E10080 1602A942
	ds_read_b128 v[92:95], v10 offset:8704                     // 000000007710: D9FE2200 5C00000A
	v_mov_b32_e32 v44, 0                                       // 000000007718: 7E580280
	s_mov_b64 exec, s[88:89]                                   // 00000000771C: BEFE0158
	buffer_load_dword v44, v252, s[20:23], 0 idxen             // 000000007720: E0502000 80052CFC
	s_mov_b64 exec, s[86:87]                                   // 000000007728: BEFE0156
	v_mfma_f32_16x16x16_bf16 v[128:131], v[68:69], a[88:89], v[128:131]// 00000000772C: D3E10080 1602B144
	v_perm_b32 v90, v43, v42, s63                              // 000000007734: D1ED005A 00FE552B
	v_perm_b32 v91, v43, v42, s64                              // 00000000773C: D1ED005B 0102552B
	v_mfma_f32_16x16x16_bf16 v[128:131], v[70:71], a[92:93], v[128:131]// 000000007744: D3E10080 1602B946
	ds_read_b128 v[96:99], v10 offset:9216                     // 00000000774C: D9FE2400 6000000A
	v_mov_b32_e32 v45, 0                                       // 000000007754: 7E5A0280
	s_mov_b64 exec, s[88:89]                                   // 000000007758: BEFE0158
	buffer_load_dword v45, v253, s[20:23], 0 idxen             // 00000000775C: E0502000 80052DFD
	s_mov_b64 exec, s[86:87]                                   // 000000007764: BEFE0156
	v_mfma_f32_16x16x16_bf16 v[132:135], v[48:49], a[50:51], 0 // 000000007768: D3E10084 12026530
	v_mov_b32_dpp v127, v124 quad_perm:[3,3,3,3] row_mask:0xf bank_mask:0xf// 000000007770: 7EFE02FA FF00FF7C
	v_mov_b32_dpp v126, v124 quad_perm:[2,2,2,2] row_mask:0xf bank_mask:0xf// 000000007778: 7EFC02FA FF00AA7C
	v_mfma_f32_16x16x16_bf16 v[132:135], v[50:51], a[54:55], v[132:135]// 000000007780: D3E10084 16126D32
	ds_read_b128 v[100:103], v10 offset:10880                  // 000000007788: D9FE2A80 6400000A
	v_mov_b32_e32 v46, 0                                       // 000000007790: 7E5C0280
	s_mov_b64 exec, s[88:89]                                   // 000000007794: BEFE0158
	buffer_load_dword v46, v254, s[20:23], 0 idxen             // 000000007798: E0502000 80052EFE
	s_mov_b64 exec, s[86:87]                                   // 0000000077A0: BEFE0156
	v_mfma_f32_16x16x16_bf16 v[132:135], v[52:53], a[58:59], v[132:135]// 0000000077A4: D3E10084 16127534
	v_mov_b32_dpp v125, v124 quad_perm:[1,1,1,1] row_mask:0xf bank_mask:0xf// 0000000077AC: 7EFA02FA FF00557C
	v_mov_b32_dpp v124, v124 quad_perm:[0,0,0,0] row_mask:0xf bank_mask:0xf// 0000000077B4: 7EF802FA FF00007C
	s_add_u32 s60, 64, s59                                     // 0000000077BC: 803C3BC0
	v_mfma_f32_16x16x16_bf16 v[132:135], v[54:55], a[62:63], v[132:135]// 0000000077C0: D3E10084 16127D36
	ds_read_b128 v[104:107], v10 offset:11392                  // 0000000077C8: D9FE2C80 6800000A
	v_mov_b32_e32 v47, 0                                       // 0000000077D0: 7E5E0280
	s_mov_b64 exec, s[88:89]                                   // 0000000077D4: BEFE0158
	buffer_load_dword v47, v255, s[20:23], 0 idxen             // 0000000077D8: E0502000 80052FFF
	s_mov_b64 exec, s[86:87]                                   // 0000000077E0: BEFE0156
	v_mfma_f32_16x16x16_bf16 v[132:135], v[56:57], a[66:67], v[132:135]// 0000000077E4: D3E10084 16128538
	s_cmp_lt_u32 s60, s58                                      // 0000000077EC: BF0A3A3C
	s_cselect_b32 s68, s68, 0                                  // 0000000077F0: 85448044
	s_cselect_b32 s97, s97, 0                                  // 0000000077F4: 85618061
	s_cselect_b32 s69, s69, 0                                  // 0000000077F8: 85458045
	v_mfma_f32_16x16x16_bf16 v[132:135], v[58:59], a[70:71], v[132:135]// 0000000077FC: D3E10084 16128D3A
	buffer_load_dword v9, s[24:27], 0 idxen lds                // 000000007804: E0512000 80060009
	v_mfma_f32_16x16x16_bf16 v[132:135], v[60:61], a[74:75], v[132:135]// 00000000780C: D3E10084 1612953C
	v_add_u32_e32 v1, s68, v1                                  // 000000007814: 68020244
	v_add_u32_e32 v2, s68, v2                                  // 000000007818: 68040444
	v_add_u32_e32 v3, s68, v3                                  // 00000000781C: 68060644
	v_add_u32_e32 v4, s68, v4                                  // 000000007820: 68080844
	v_mfma_f32_16x16x16_bf16 v[132:135], v[62:63], a[78:79], v[132:135]// 000000007824: D3E10084 16129D3E
	v_add_u32_e32 v252, s97, v252                              // 00000000782C: 69F9F861
	v_add_u32_e32 v253, s97, v253                              // 000000007830: 69FBFA61
	v_add_u32_e32 v254, s97, v254                              // 000000007834: 69FDFC61
	v_add_u32_e32 v255, s97, v255                              // 000000007838: 69FFFE61
	v_mfma_f32_16x16x16_bf16 v[132:135], v[64:65], a[82:83], v[132:135]// 00000000783C: D3E10084 1612A540
	s_mov_b32 m0, s76                                          // 000000007844: BEFC004C
	v_add_u32_e32 v9, s69, v9                                  // 000000007848: 68121245
	v_mfma_f32_16x16x16_bf16 v[132:135], v[66:67], a[86:87], v[132:135]// 00000000784C: D3E10084 1612AD42
	s_cmp_ge_u32 s59, s101                                     // 000000007854: BF09653B
	s_cselect_b32 s66, s67, s66                                // 000000007858: 85424243
	v_mfma_f32_16x16x16_bf16 v[132:135], v[68:69], a[90:91], v[132:135]// 00000000785C: D3E10084 1612B544
	s_addk_i32 s59, 0x10                                       // 000000007864: B73B0010
	s_nop 0                                                    // 000000007868: BF800000
	s_cmp_lt_i32 s59, s58                                      // 00000000786C: BF043A3B
	v_mfma_f32_16x16x16_bf16 v[132:135], v[70:71], a[94:95], v[132:135]// 000000007870: D3E10084 1612BD46
	s_cbranch_scc0 label_1361                                  // 000000007878: BF8404B6
	s_waitcnt lgkmcnt(0)                                       // 00000000787C: BF8CC07F
	s_barrier                                                  // 000000007880: BF8A0000
	v_mfma_f32_16x16x16_bf16 v[48:51], a[144:145], a[0:1], 0   // 000000007884: D3E10030 1A020190
	ds_write_b32 v11, v40 offset:8704                          // 00000000788C: D81A2200 0000280B
	ds_write_b32 v11, v41 offset:9760                          // 000000007894: D81A2620 0000290B
	v_mfma_f32_16x16x16_bf16 v[48:51], a[146:147], a[2:3], v[48:51]// 00000000789C: D3E10030 1CC20592
	v_mul_f32_e32 v128, s47, v128                              // 0000000078A4: 0B01002F
	v_mul_f32_e32 v129, s47, v129                              // 0000000078A8: 0B03022F
	v_mfma_f32_16x16x16_bf16 v[48:51], a[148:149], a[4:5], v[48:51]// 0000000078AC: D3E10030 1CC20994
	ds_write_b32 v11, v42 offset:8832                          // 0000000078B4: D81A2280 00002A0B
	ds_write_b32 v11, v43 offset:9888                          // 0000000078BC: D81A26A0 00002B0B
	v_mfma_f32_16x16x16_bf16 v[48:51], a[150:151], a[6:7], v[48:51]// 0000000078C4: D3E10030 1CC20D96
	v_mul_f32_e32 v130, s47, v130                              // 0000000078CC: 0B05042F
	v_mul_f32_e32 v131, s47, v131                              // 0000000078D0: 0B07062F
	v_mfma_f32_16x16x16_bf16 v[48:51], a[152:153], a[8:9], v[48:51]// 0000000078D4: D3E10030 1CC21198
	ds_write_b64 v20, v[128:129] offset:24320                  // 0000000078DC: D89A5F00 00008014
	v_mfma_f32_16x16x16_bf16 v[48:51], a[154:155], a[10:11], v[48:51]// 0000000078E4: D3E10030 1CC2159A
	v_mul_f32_e32 v132, s47, v132                              // 0000000078EC: 0B09082F
	v_mul_f32_e32 v133, s47, v133                              // 0000000078F0: 0B0B0A2F
	v_mfma_f32_16x16x16_bf16 v[48:51], a[156:157], a[12:13], v[48:51]// 0000000078F4: D3E10030 1CC2199C
	ds_write_b64 v20, v[130:131] offset:24832                  // 0000000078FC: D89A6100 00008214
	v_mfma_f32_16x16x16_bf16 v[48:51], a[158:159], a[14:15], v[48:51]// 000000007904: D3E10030 1CC21D9E
	v_mul_f32_e32 v134, s47, v134                              // 00000000790C: 0B0D0C2F
	v_mul_f32_e32 v135, s47, v135                              // 000000007910: 0B0F0E2F
	v_mfma_f32_16x16x16_bf16 v[52:55], a[144:145], a[16:17], 0 // 000000007914: D3E10034 1A022190
	ds_write_b64 v20, v[132:133] offset:25344                  // 00000000791C: D89A6300 00008414
	v_mfma_f32_16x16x16_bf16 v[52:55], a[146:147], a[18:19], v[52:55]// 000000007924: D3E10034 1CD22592
	buffer_atomic_add_f32 v140, v7, s[32:35], 0 offen offset:256// 00000000792C: E1341100 80088C07
	v_mfma_f32_16x16x16_bf16 v[52:55], a[148:149], a[20:21], v[52:55]// 000000007934: D3E10034 1CD22994
	ds_write_b64 v20, v[134:135] offset:25856                  // 00000000793C: D89A6500 00008614
	v_mfma_f32_16x16x16_bf16 v[52:55], a[150:151], a[22:23], v[52:55]// 000000007944: D3E10034 1CD22D96
	v_mfma_f32_16x16x16_bf16 v[52:55], a[152:153], a[24:25], v[52:55]// 00000000794C: D3E10034 1CD23198
	ds_read_b128 v[108:111], v12 offset:13056                  // 000000007954: D9FE3300 6C00000C
	ds_write_b32 v11, v32                                      // 00000000795C: D81A0000 0000200B
	v_mfma_f32_16x16x16_bf16 v[52:55], a[154:155], a[26:27], v[52:55]// 000000007964: D3E10034 1CD2359A
	buffer_atomic_add_f32 v141, v8, s[32:35], 0 offen offset:256// 00000000796C: E1341100 80088D08
	v_mfma_f32_16x16x16_bf16 v[52:55], a[156:157], a[28:29], v[52:55]// 000000007974: D3E10034 1CD2399C
	v_mfma_f32_16x16x16_bf16 v[52:55], a[158:159], a[30:31], v[52:55]// 00000000797C: D3E10034 1CD23D9E
	ds_read_b128 v[112:115], v12 offset:13568                  // 000000007984: D9FE3500 7000000C
	ds_write_b32 v11, v33 offset:1056                          // 00000000798C: D81A0420 0000210B
	v_mfma_f32_16x16x16_bf16 v[56:59], a[144:145], a[32:33], 0 // 000000007994: D3E10038 1A024190
	buffer_atomic_add_f32 v142, v7, s[32:35], 0 offen offset:384// 00000000799C: E1341180 80088E07
	v_mfma_f32_16x16x16_bf16 v[56:59], a[146:147], a[34:35], v[56:59]// 0000000079A4: D3E10038 1CE24592
	v_mfma_f32_16x16x16_bf16 v[56:59], a[148:149], a[36:37], v[56:59]// 0000000079AC: D3E10038 1CE24994
	ds_read_b128 v[116:119], v12 offset:15232                  // 0000000079B4: D9FE3B80 7400000C
	ds_write_b32 v11, v34 offset:128                           // 0000000079BC: D81A0080 0000220B
	v_mfma_f32_16x16x16_bf16 v[56:59], a[150:151], a[38:39], v[56:59]// 0000000079C4: D3E10038 1CE24D96
	v_mfma_f32_16x16x16_bf16 v[56:59], a[152:153], a[40:41], v[56:59]// 0000000079CC: D3E10038 1CE25198
	buffer_atomic_add_f32 v143, v8, s[32:35], 0 offen offset:384// 0000000079D4: E1341180 80088F08
	v_mfma_f32_16x16x16_bf16 v[56:59], a[154:155], a[42:43], v[56:59]// 0000000079DC: D3E10038 1CE2559A
	ds_read_b128 v[120:123], v12 offset:15744                  // 0000000079E4: D9FE3D80 7800000C
	ds_write_b32 v11, v35 offset:1184                          // 0000000079EC: D81A04A0 0000230B
	v_mfma_f32_16x16x16_bf16 v[56:59], a[156:157], a[44:45], v[56:59]// 0000000079F4: D3E10038 1CE2599C
	v_mfma_f32_16x16x16_bf16 v[56:59], a[158:159], a[46:47], v[56:59]// 0000000079FC: D3E10038 1CE25D9E
	s_add_i32 s82, s59, s99                                    // 000000007A04: 8152633B
	s_sub_i32 s82, s82, 1                                      // 000000007A08: 81D28152
	s_add_i32 s81, s59, 16                                     // 000000007A0C: 8151903B
	s_sub_i32 s81, s81, s100                                   // 000000007A10: 81D16451
	s_add_i32 s81, s81, 1                                      // 000000007A14: 81518151
	s_branch label_0F0D                                        // 000000007A18: BF820000

0000000000007a1c <label_0F0D>:
	s_add_i32 s62, 0, s46                                      // 000000007A1C: 813E2E80
	s_mul_i32 s62, s62, 16                                     // 000000007A20: 923E903E
	s_add_i32 s62, s80, s62                                    // 000000007A24: 813E3E50
	s_add_i32 s61, s62, 16                                     // 000000007A28: 813D903E
	s_add_i32 s61, s61, 16                                     // 000000007A2C: 813D903D
	s_cmp_lt_i32 s61, s81                                      // 000000007A30: BF04513D
	s_cselect_b32 s60, 1, 0                                    // 000000007A34: 853C8081
	s_sub_i32 s62, s62, 16                                     // 000000007A38: 81BE903E
	s_cmp_gt_i32 s62, s82                                      // 000000007A3C: BF02523E
	s_cselect_b32 s61, 1, 0                                    // 000000007A40: 853D8081
	s_or_b32 s60, s60, s61                                     // 000000007A44: 873C3D3C
	s_cmp_eq_i32 s60, 1                                        // 000000007A48: BF00813C
	s_cbranch_scc1 label_0FA0                                  // 000000007A4C: BF850085
	s_add_i32 s61, s62, 32                                     // 000000007A50: 813DA03E
	s_add_i32 s62, s62, 16                                     // 000000007A54: 813E903E
	s_cmp_lt_i32 s62, s81                                      // 000000007A58: BF04513E
	s_cselect_b32 s60, 1, 0                                    // 000000007A5C: 853C8081
	s_cmp_gt_i32 s61, s82                                      // 000000007A60: BF02523D
	s_cselect_b32 s61, 1, 0                                    // 000000007A64: 853D8081
	s_or_b32 s60, s60, s61                                     // 000000007A68: 873C3D3C
	s_cmp_eq_i32 s60, 1                                        // 000000007A6C: BF00813C
	s_cbranch_scc1 label_0F53                                  // 000000007A70: BF85002F
	s_branch label_0F24                                        // 000000007A74: BF820000

0000000000007a78 <label_0F24>:
	s_add_i32 s62, 4, s46                                      // 000000007A78: 813E2E84
	s_mul_i32 s62, s62, 16                                     // 000000007A7C: 923E903E
	s_add_i32 s62, s80, s62                                    // 000000007A80: 813E3E50
	s_add_i32 s61, s62, 16                                     // 000000007A84: 813D903E
	s_add_i32 s61, s61, 16                                     // 000000007A88: 813D903D
	s_cmp_lt_i32 s61, s81                                      // 000000007A8C: BF04513D
	s_cselect_b32 s60, 1, 0                                    // 000000007A90: 853C8081
	s_sub_i32 s62, s62, 16                                     // 000000007A94: 81BE903E
	s_cmp_gt_i32 s62, s82                                      // 000000007A98: BF02523E
	s_cselect_b32 s61, 1, 0                                    // 000000007A9C: 853D8081
	s_or_b32 s60, s60, s61                                     // 000000007AA0: 873C3D3C
	s_cmp_eq_i32 s60, 1                                        // 000000007AA4: BF00813C
	s_cbranch_scc1 label_0FF2                                  // 000000007AA8: BF8500C0
	s_add_i32 s61, s62, 32                                     // 000000007AAC: 813DA03E
	s_add_i32 s62, s62, 16                                     // 000000007AB0: 813E903E
	s_cmp_lt_i32 s62, s81                                      // 000000007AB4: BF04513E
	s_cselect_b32 s60, 1, 0                                    // 000000007AB8: 853C8081
	s_cmp_gt_i32 s61, s82                                      // 000000007ABC: BF02523D
	s_cselect_b32 s61, 1, 0                                    // 000000007AC0: 853D8081
	s_or_b32 s60, s60, s61                                     // 000000007AC4: 873C3D3C
	s_cmp_eq_i32 s60, 1                                        // 000000007AC8: BF00813C
	s_cbranch_scc1 label_0FA5                                  // 000000007ACC: BF85006A
	s_branch label_0F3B                                        // 000000007AD0: BF820000

0000000000007ad4 <label_0F3B>:
	s_add_i32 s62, 8, s46                                      // 000000007AD4: 813E2E88
	s_mul_i32 s62, s62, 16                                     // 000000007AD8: 923E903E
	s_add_i32 s62, s80, s62                                    // 000000007ADC: 813E3E50
	s_add_i32 s61, s62, 16                                     // 000000007AE0: 813D903E
	s_add_i32 s61, s61, 16                                     // 000000007AE4: 813D903D
	s_cmp_lt_i32 s61, s81                                      // 000000007AE8: BF04513D
	s_cselect_b32 s60, 1, 0                                    // 000000007AEC: 853C8081
	s_sub_i32 s62, s62, 16                                     // 000000007AF0: 81BE903E
	s_cmp_gt_i32 s62, s82                                      // 000000007AF4: BF02523E
	s_cselect_b32 s61, 1, 0                                    // 000000007AF8: 853D8081
	s_or_b32 s60, s60, s61                                     // 000000007AFC: 873C3D3C
	s_cmp_eq_i32 s60, 1                                        // 000000007B00: BF00813C
	s_cbranch_scc1 label_1044                                  // 000000007B04: BF8500FB
	s_add_i32 s61, s62, 32                                     // 000000007B08: 813DA03E
	s_add_i32 s62, s62, 16                                     // 000000007B0C: 813E903E
	s_cmp_lt_i32 s62, s81                                      // 000000007B10: BF04513E
	s_cselect_b32 s60, 1, 0                                    // 000000007B14: 853C8081
	s_cmp_gt_i32 s61, s82                                      // 000000007B18: BF02523D
	s_cselect_b32 s61, 1, 0                                    // 000000007B1C: 853D8081
	s_or_b32 s60, s60, s61                                     // 000000007B20: 873C3D3C
	s_cmp_eq_i32 s60, 1                                        // 000000007B24: BF00813C
	s_cbranch_scc1 label_0FF7                                  // 000000007B28: BF8500A5
	s_branch label_1049                                        // 000000007B2C: BF8200F6

0000000000007b30 <label_0F53>:
	v_and_b32_e32 v28, 15, v0                                  // 000000007B30: 2638008F
	v_add_u32_e32 v28, s62, v28                                // 000000007B34: 6838383E
	v_lshrrev_b32_e32 v29, 4, v0                               // 000000007B38: 203A0084
	v_lshlrev_b32_e32 v29, 2, v29                              // 000000007B3C: 243A3A82
	v_add_i32 v29, 0, v29                                      // 000000007B40: D29C001D 00023A80
	v_add_i32 v29, s59, v29                                    // 000000007B48: D29C001D 00023A3B
	v_sub_i32 v29, v29, v28                                    // 000000007B50: D29D001D 0002391D
	v_cmp_ge_i32_e64 vcc, v29, s100                            // 000000007B58: D0C6006A 0000C91D
	v_sub_i32 v29, 0, v29                                      // 000000007B60: D29D001D 00023A80
	v_cndmask_b32_e32 v48, v48, v151, vcc                      // 000000007B68: 00612F30
	v_cmp_ge_i32_e64 vcc, v29, s99                             // 000000007B6C: D0C6006A 0000C71D
	s_nop 1                                                    // 000000007B74: BF800001
	v_cndmask_b32_e32 v48, v48, v151, vcc                      // 000000007B78: 00612F30
	v_and_b32_e32 v28, 15, v0                                  // 000000007B7C: 2638008F
	v_add_u32_e32 v28, s62, v28                                // 000000007B80: 6838383E
	v_lshrrev_b32_e32 v29, 4, v0                               // 000000007B84: 203A0084
	v_lshlrev_b32_e32 v29, 2, v29                              // 000000007B88: 243A3A82
	v_add_i32 v29, 1, v29                                      // 000000007B8C: D29C001D 00023A81
	v_add_i32 v29, s59, v29                                    // 000000007B94: D29C001D 00023A3B
	v_sub_i32 v29, v29, v28                                    // 000000007B9C: D29D001D 0002391D
	v_cmp_ge_i32_e64 vcc, v29, s100                            // 000000007BA4: D0C6006A 0000C91D
	v_sub_i32 v29, 0, v29                                      // 000000007BAC: D29D001D 00023A80
	v_cndmask_b32_e32 v49, v49, v151, vcc                      // 000000007BB4: 00632F31
	v_cmp_ge_i32_e64 vcc, v29, s99                             // 000000007BB8: D0C6006A 0000C71D
	s_nop 1                                                    // 000000007BC0: BF800001
	v_cndmask_b32_e32 v49, v49, v151, vcc                      // 000000007BC4: 00632F31
	v_and_b32_e32 v28, 15, v0                                  // 000000007BC8: 2638008F
	v_add_u32_e32 v28, s62, v28                                // 000000007BCC: 6838383E
	v_lshrrev_b32_e32 v29, 4, v0                               // 000000007BD0: 203A0084
	v_lshlrev_b32_e32 v29, 2, v29                              // 000000007BD4: 243A3A82
	v_add_i32 v29, 2, v29                                      // 000000007BD8: D29C001D 00023A82
	v_add_i32 v29, s59, v29                                    // 000000007BE0: D29C001D 00023A3B
	v_sub_i32 v29, v29, v28                                    // 000000007BE8: D29D001D 0002391D
	v_cmp_ge_i32_e64 vcc, v29, s100                            // 000000007BF0: D0C6006A 0000C91D
	v_sub_i32 v29, 0, v29                                      // 000000007BF8: D29D001D 00023A80
	v_cndmask_b32_e32 v50, v50, v151, vcc                      // 000000007C00: 00652F32
	v_cmp_ge_i32_e64 vcc, v29, s99                             // 000000007C04: D0C6006A 0000C71D
	s_nop 1                                                    // 000000007C0C: BF800001
	v_cndmask_b32_e32 v50, v50, v151, vcc                      // 000000007C10: 00652F32
	v_and_b32_e32 v28, 15, v0                                  // 000000007C14: 2638008F
	v_add_u32_e32 v28, s62, v28                                // 000000007C18: 6838383E
	v_lshrrev_b32_e32 v29, 4, v0                               // 000000007C1C: 203A0084
	v_lshlrev_b32_e32 v29, 2, v29                              // 000000007C20: 243A3A82
	v_add_i32 v29, 3, v29                                      // 000000007C24: D29C001D 00023A83
	v_add_i32 v29, s59, v29                                    // 000000007C2C: D29C001D 00023A3B
	v_sub_i32 v29, v29, v28                                    // 000000007C34: D29D001D 0002391D
	v_cmp_ge_i32_e64 vcc, v29, s100                            // 000000007C3C: D0C6006A 0000C91D
	v_sub_i32 v29, 0, v29                                      // 000000007C44: D29D001D 00023A80
	v_cndmask_b32_e32 v51, v51, v151, vcc                      // 000000007C4C: 00672F33
	v_cmp_ge_i32_e64 vcc, v29, s99                             // 000000007C50: D0C6006A 0000C71D
	s_nop 1                                                    // 000000007C58: BF800001
	v_cndmask_b32_e32 v51, v51, v151, vcc                      // 000000007C5C: 00672F33
	s_branch label_0F24                                        // 000000007C60: BF82FF85

0000000000007c64 <label_0FA0>:
	v_mov_b32_e32 v48, v151                                    // 000000007C64: 7E600397
	v_mov_b32_e32 v49, v151                                    // 000000007C68: 7E620397
	v_mov_b32_e32 v50, v151                                    // 000000007C6C: 7E640397
	v_mov_b32_e32 v51, v151                                    // 000000007C70: 7E660397
	s_branch label_0F24                                        // 000000007C74: BF82FF80

0000000000007c78 <label_0FA5>:
	v_and_b32_e32 v28, 15, v0                                  // 000000007C78: 2638008F
	v_add_u32_e32 v28, s62, v28                                // 000000007C7C: 6838383E
	v_lshrrev_b32_e32 v29, 4, v0                               // 000000007C80: 203A0084
	v_lshlrev_b32_e32 v29, 2, v29                              // 000000007C84: 243A3A82
	v_add_i32 v29, 0, v29                                      // 000000007C88: D29C001D 00023A80
	v_add_i32 v29, s59, v29                                    // 000000007C90: D29C001D 00023A3B
	v_sub_i32 v29, v29, v28                                    // 000000007C98: D29D001D 0002391D
	v_cmp_ge_i32_e64 vcc, v29, s100                            // 000000007CA0: D0C6006A 0000C91D
	v_sub_i32 v29, 0, v29                                      // 000000007CA8: D29D001D 00023A80
	v_cndmask_b32_e32 v52, v52, v151, vcc                      // 000000007CB0: 00692F34
	v_cmp_ge_i32_e64 vcc, v29, s99                             // 000000007CB4: D0C6006A 0000C71D
	s_nop 1                                                    // 000000007CBC: BF800001
	v_cndmask_b32_e32 v52, v52, v151, vcc                      // 000000007CC0: 00692F34
	v_and_b32_e32 v28, 15, v0                                  // 000000007CC4: 2638008F
	v_add_u32_e32 v28, s62, v28                                // 000000007CC8: 6838383E
	v_lshrrev_b32_e32 v29, 4, v0                               // 000000007CCC: 203A0084
	v_lshlrev_b32_e32 v29, 2, v29                              // 000000007CD0: 243A3A82
	v_add_i32 v29, 1, v29                                      // 000000007CD4: D29C001D 00023A81
	v_add_i32 v29, s59, v29                                    // 000000007CDC: D29C001D 00023A3B
	v_sub_i32 v29, v29, v28                                    // 000000007CE4: D29D001D 0002391D
	v_cmp_ge_i32_e64 vcc, v29, s100                            // 000000007CEC: D0C6006A 0000C91D
	v_sub_i32 v29, 0, v29                                      // 000000007CF4: D29D001D 00023A80
	v_cndmask_b32_e32 v53, v53, v151, vcc                      // 000000007CFC: 006B2F35
	v_cmp_ge_i32_e64 vcc, v29, s99                             // 000000007D00: D0C6006A 0000C71D
	s_nop 1                                                    // 000000007D08: BF800001
	v_cndmask_b32_e32 v53, v53, v151, vcc                      // 000000007D0C: 006B2F35
	v_and_b32_e32 v28, 15, v0                                  // 000000007D10: 2638008F
	v_add_u32_e32 v28, s62, v28                                // 000000007D14: 6838383E
	v_lshrrev_b32_e32 v29, 4, v0                               // 000000007D18: 203A0084
	v_lshlrev_b32_e32 v29, 2, v29                              // 000000007D1C: 243A3A82
	v_add_i32 v29, 2, v29                                      // 000000007D20: D29C001D 00023A82
	v_add_i32 v29, s59, v29                                    // 000000007D28: D29C001D 00023A3B
	v_sub_i32 v29, v29, v28                                    // 000000007D30: D29D001D 0002391D
	v_cmp_ge_i32_e64 vcc, v29, s100                            // 000000007D38: D0C6006A 0000C91D
	v_sub_i32 v29, 0, v29                                      // 000000007D40: D29D001D 00023A80
	v_cndmask_b32_e32 v54, v54, v151, vcc                      // 000000007D48: 006D2F36
	v_cmp_ge_i32_e64 vcc, v29, s99                             // 000000007D4C: D0C6006A 0000C71D
	s_nop 1                                                    // 000000007D54: BF800001
	v_cndmask_b32_e32 v54, v54, v151, vcc                      // 000000007D58: 006D2F36
	v_and_b32_e32 v28, 15, v0                                  // 000000007D5C: 2638008F
	v_add_u32_e32 v28, s62, v28                                // 000000007D60: 6838383E
	v_lshrrev_b32_e32 v29, 4, v0                               // 000000007D64: 203A0084
	v_lshlrev_b32_e32 v29, 2, v29                              // 000000007D68: 243A3A82
	v_add_i32 v29, 3, v29                                      // 000000007D6C: D29C001D 00023A83
	v_add_i32 v29, s59, v29                                    // 000000007D74: D29C001D 00023A3B
	v_sub_i32 v29, v29, v28                                    // 000000007D7C: D29D001D 0002391D
	v_cmp_ge_i32_e64 vcc, v29, s100                            // 000000007D84: D0C6006A 0000C91D
	v_sub_i32 v29, 0, v29                                      // 000000007D8C: D29D001D 00023A80
	v_cndmask_b32_e32 v55, v55, v151, vcc                      // 000000007D94: 006F2F37
	v_cmp_ge_i32_e64 vcc, v29, s99                             // 000000007D98: D0C6006A 0000C71D
	s_nop 1                                                    // 000000007DA0: BF800001
	v_cndmask_b32_e32 v55, v55, v151, vcc                      // 000000007DA4: 006F2F37
	s_branch label_0F3B                                        // 000000007DA8: BF82FF4A

0000000000007dac <label_0FF2>:
	v_mov_b32_e32 v52, v151                                    // 000000007DAC: 7E680397
	v_mov_b32_e32 v53, v151                                    // 000000007DB0: 7E6A0397
	v_mov_b32_e32 v54, v151                                    // 000000007DB4: 7E6C0397
	v_mov_b32_e32 v55, v151                                    // 000000007DB8: 7E6E0397
	s_branch label_0F3B                                        // 000000007DBC: BF82FF45

0000000000007dc0 <label_0FF7>:
	v_and_b32_e32 v28, 15, v0                                  // 000000007DC0: 2638008F
	v_add_u32_e32 v28, s62, v28                                // 000000007DC4: 6838383E
	v_lshrrev_b32_e32 v29, 4, v0                               // 000000007DC8: 203A0084
	v_lshlrev_b32_e32 v29, 2, v29                              // 000000007DCC: 243A3A82
	v_add_i32 v29, 0, v29                                      // 000000007DD0: D29C001D 00023A80
	v_add_i32 v29, s59, v29                                    // 000000007DD8: D29C001D 00023A3B
	v_sub_i32 v29, v29, v28                                    // 000000007DE0: D29D001D 0002391D
	v_cmp_ge_i32_e64 vcc, v29, s100                            // 000000007DE8: D0C6006A 0000C91D
	v_sub_i32 v29, 0, v29                                      // 000000007DF0: D29D001D 00023A80
	v_cndmask_b32_e32 v56, v56, v151, vcc                      // 000000007DF8: 00712F38
	v_cmp_ge_i32_e64 vcc, v29, s99                             // 000000007DFC: D0C6006A 0000C71D
	s_nop 1                                                    // 000000007E04: BF800001
	v_cndmask_b32_e32 v56, v56, v151, vcc                      // 000000007E08: 00712F38
	v_and_b32_e32 v28, 15, v0                                  // 000000007E0C: 2638008F
	v_add_u32_e32 v28, s62, v28                                // 000000007E10: 6838383E
	v_lshrrev_b32_e32 v29, 4, v0                               // 000000007E14: 203A0084
	v_lshlrev_b32_e32 v29, 2, v29                              // 000000007E18: 243A3A82
	v_add_i32 v29, 1, v29                                      // 000000007E1C: D29C001D 00023A81
	v_add_i32 v29, s59, v29                                    // 000000007E24: D29C001D 00023A3B
	v_sub_i32 v29, v29, v28                                    // 000000007E2C: D29D001D 0002391D
	v_cmp_ge_i32_e64 vcc, v29, s100                            // 000000007E34: D0C6006A 0000C91D
	v_sub_i32 v29, 0, v29                                      // 000000007E3C: D29D001D 00023A80
	v_cndmask_b32_e32 v57, v57, v151, vcc                      // 000000007E44: 00732F39
	v_cmp_ge_i32_e64 vcc, v29, s99                             // 000000007E48: D0C6006A 0000C71D
	s_nop 1                                                    // 000000007E50: BF800001
	v_cndmask_b32_e32 v57, v57, v151, vcc                      // 000000007E54: 00732F39
	v_and_b32_e32 v28, 15, v0                                  // 000000007E58: 2638008F
	v_add_u32_e32 v28, s62, v28                                // 000000007E5C: 6838383E
	v_lshrrev_b32_e32 v29, 4, v0                               // 000000007E60: 203A0084
	v_lshlrev_b32_e32 v29, 2, v29                              // 000000007E64: 243A3A82
	v_add_i32 v29, 2, v29                                      // 000000007E68: D29C001D 00023A82
	v_add_i32 v29, s59, v29                                    // 000000007E70: D29C001D 00023A3B
	v_sub_i32 v29, v29, v28                                    // 000000007E78: D29D001D 0002391D
	v_cmp_ge_i32_e64 vcc, v29, s100                            // 000000007E80: D0C6006A 0000C91D
	v_sub_i32 v29, 0, v29                                      // 000000007E88: D29D001D 00023A80
	v_cndmask_b32_e32 v58, v58, v151, vcc                      // 000000007E90: 00752F3A
	v_cmp_ge_i32_e64 vcc, v29, s99                             // 000000007E94: D0C6006A 0000C71D
	s_nop 1                                                    // 000000007E9C: BF800001
	v_cndmask_b32_e32 v58, v58, v151, vcc                      // 000000007EA0: 00752F3A
	v_and_b32_e32 v28, 15, v0                                  // 000000007EA4: 2638008F
	v_add_u32_e32 v28, s62, v28                                // 000000007EA8: 6838383E
	v_lshrrev_b32_e32 v29, 4, v0                               // 000000007EAC: 203A0084
	v_lshlrev_b32_e32 v29, 2, v29                              // 000000007EB0: 243A3A82
	v_add_i32 v29, 3, v29                                      // 000000007EB4: D29C001D 00023A83
	v_add_i32 v29, s59, v29                                    // 000000007EBC: D29C001D 00023A3B
	v_sub_i32 v29, v29, v28                                    // 000000007EC4: D29D001D 0002391D
	v_cmp_ge_i32_e64 vcc, v29, s100                            // 000000007ECC: D0C6006A 0000C91D
	v_sub_i32 v29, 0, v29                                      // 000000007ED4: D29D001D 00023A80
	v_cndmask_b32_e32 v59, v59, v151, vcc                      // 000000007EDC: 00772F3B
	v_cmp_ge_i32_e64 vcc, v29, s99                             // 000000007EE0: D0C6006A 0000C71D
	s_nop 1                                                    // 000000007EE8: BF800001
	v_cndmask_b32_e32 v59, v59, v151, vcc                      // 000000007EEC: 00772F3B
	s_branch label_1049                                        // 000000007EF0: BF820005

0000000000007ef4 <label_1044>:
	v_mov_b32_e32 v56, v151                                    // 000000007EF4: 7E700397
	v_mov_b32_e32 v57, v151                                    // 000000007EF8: 7E720397
	v_mov_b32_e32 v58, v151                                    // 000000007EFC: 7E740397
	v_mov_b32_e32 v59, v151                                    // 000000007F00: 7E760397
	s_branch label_1049                                        // 000000007F04: BF820000

0000000000007f08 <label_1049>:
	s_cmp_lt_i32 s94, 0xc0                                     // 000000007F08: BF04FF5E 000000C0
	s_cbranch_scc0 label_109E                                  // 000000007F10: BF84004D
	s_cmp_le_i32 s94, 64                                       // 000000007F14: BF05C05E
	s_cbranch_scc1 label_1055                                  // 000000007F18: BF850007
	s_cmp_le_i32 s94, 0x80                                     // 000000007F1C: BF05FF5E 00000080
	s_cbranch_scc1 label_106D                                  // 000000007F24: BF850017
	s_cmp_lt_i32 s94, 0xc0                                     // 000000007F28: BF04FF5E 000000C0
	s_cbranch_scc1 label_1085                                  // 000000007F30: BF85002C
	s_branch label_109E                                        // 000000007F34: BF820044

0000000000007f38 <label_1055>:
	s_mov_b32 s60, 0                                           // 000000007F38: BEBC0080
	v_and_b32_e32 v28, 15, v0                                  // 000000007F3C: 2638008F
	v_add_u32_e64 v28, v28, s60                                // 000000007F40: D134001C 0000791C
	v_mul_i32_i24_e64 v29, s46, 16                             // 000000007F48: D106001D 0001202E
	v_add_u32_e32 v28, v28, v29                                // 000000007F50: 68383B1C
	v_cmp_lt_u32_e64 s[60:61], v28, s94                        // 000000007F54: D0C9003C 0000BD1C
	s_nop 1                                                    // 000000007F5C: BF800001
	v_cndmask_b32_e64 v48, v151, v48, s[60:61]                 // 000000007F60: D1000030 00F26197
	v_cndmask_b32_e64 v49, v151, v49, s[60:61]                 // 000000007F68: D1000031 00F26397
	v_cndmask_b32_e64 v50, v151, v50, s[60:61]                 // 000000007F70: D1000032 00F26597
	v_cndmask_b32_e64 v51, v151, v51, s[60:61]                 // 000000007F78: D1000033 00F26797
	s_branch label_1080                                        // 000000007F80: BF820013

0000000000007f84 <label_106D>:
	s_mov_b32 s60, 64                                          // 000000007F84: BEBC00C0
	v_and_b32_e32 v28, 15, v0                                  // 000000007F88: 2638008F
	v_add_u32_e64 v28, v28, s60                                // 000000007F8C: D134001C 0000791C
	v_mul_i32_i24_e64 v29, s46, 16                             // 000000007F94: D106001D 0001202E
	v_add_u32_e32 v28, v28, v29                                // 000000007F9C: 68383B1C
	v_cmp_lt_u32_e64 s[60:61], v28, s94                        // 000000007FA0: D0C9003C 0000BD1C
	s_nop 1                                                    // 000000007FA8: BF800001
	v_cndmask_b32_e64 v52, v151, v52, s[60:61]                 // 000000007FAC: D1000034 00F26997
	v_cndmask_b32_e64 v53, v151, v53, s[60:61]                 // 000000007FB4: D1000035 00F26B97
	v_cndmask_b32_e64 v54, v151, v54, s[60:61]                 // 000000007FBC: D1000036 00F26D97
	v_cndmask_b32_e64 v55, v151, v55, s[60:61]                 // 000000007FC4: D1000037 00F26F97
	s_branch label_1099                                        // 000000007FCC: BF820019

0000000000007fd0 <label_1080>:
	v_mov_b32_e32 v52, v151                                    // 000000007FD0: 7E680397
	v_mov_b32_e32 v53, v151                                    // 000000007FD4: 7E6A0397
	v_mov_b32_e32 v54, v151                                    // 000000007FD8: 7E6C0397
	v_mov_b32_e32 v55, v151                                    // 000000007FDC: 7E6E0397
	s_branch label_1099                                        // 000000007FE0: BF820014

0000000000007fe4 <label_1085>:
	s_mov_b32 s60, 0x80                                        // 000000007FE4: BEBC00FF 00000080
	v_and_b32_e32 v28, 15, v0                                  // 000000007FEC: 2638008F
	v_add_u32_e64 v28, v28, s60                                // 000000007FF0: D134001C 0000791C
	v_mul_i32_i24_e64 v29, s46, 16                             // 000000007FF8: D106001D 0001202E
	v_add_u32_e32 v28, v28, v29                                // 000000008000: 68383B1C
	v_cmp_lt_u32_e64 s[60:61], v28, s94                        // 000000008004: D0C9003C 0000BD1C
	s_nop 1                                                    // 00000000800C: BF800001
	v_cndmask_b32_e64 v56, v151, v56, s[60:61]                 // 000000008010: D1000038 00F27197
	v_cndmask_b32_e64 v57, v151, v57, s[60:61]                 // 000000008018: D1000039 00F27397
	v_cndmask_b32_e64 v58, v151, v58, s[60:61]                 // 000000008020: D100003A 00F27597
	v_cndmask_b32_e64 v59, v151, v59, s[60:61]                 // 000000008028: D100003B 00F27797
	s_branch label_109E                                        // 000000008030: BF820005

0000000000008034 <label_1099>:
	v_mov_b32_e32 v56, v151                                    // 000000008034: 7E700397
	v_mov_b32_e32 v57, v151                                    // 000000008038: 7E720397
	v_mov_b32_e32 v58, v151                                    // 00000000803C: 7E740397
	v_mov_b32_e32 v59, v151                                    // 000000008040: 7E760397
	s_branch label_109E                                        // 000000008044: BF820000

0000000000008048 <label_109E>:
	s_waitcnt lgkmcnt(8)                                       // 000000008048: BF8CC87F
	s_barrier                                                  // 00000000804C: BF8A0000
	v_mfma_f32_16x16x16_bf16 v[72:75], v[92:93], a[96:97], 0   // 000000008050: D3E10048 1202C15C
	ds_read_b128 a[144:147], v12 offset:4352                   // 000000008058: DBFE1100 9000000C
	ds_read_b128 a[148:151], v12 offset:4864                   // 000000008060: DBFE1300 9400000C
	v_mfma_f32_16x16x16_bf16 v[72:75], v[94:95], a[98:99], v[72:75]// 000000008068: D3E10048 1522C55E
	v_fma_f32 v48, v48, s57, -v124                             // 000000008070: D1CB0030 85F07330
	v_fma_f32 v49, v49, s57, -v125                             // 000000008078: D1CB0031 85F47331
	v_fma_f32 v50, v50, s57, -v126                             // 000000008080: D1CB0032 85F87332
	v_mfma_f32_16x16x16_bf16 v[72:75], v[96:97], a[100:101], v[72:75]// 000000008088: D3E10048 1522C960
	v_fma_f32 v51, v51, s57, -v127                             // 000000008090: D1CB0033 85FC7333
	v_fma_f32 v52, v52, s57, -v124                             // 000000008098: D1CB0034 85F07334
	v_fma_f32 v53, v53, s57, -v125                             // 0000000080A0: D1CB0035 85F47335
	v_mfma_f32_16x16x16_bf16 v[72:75], v[98:99], a[102:103], v[72:75]// 0000000080A8: D3E10048 1522CD62
	v_fma_f32 v54, v54, s57, -v126                             // 0000000080B0: D1CB0036 85F87336
	v_fma_f32 v55, v55, s57, -v127                             // 0000000080B8: D1CB0037 85FC7337
	v_fma_f32 v56, v56, s57, -v124                             // 0000000080C0: D1CB0038 85F07338
	v_mfma_f32_16x16x16_bf16 v[72:75], v[100:101], a[104:105], v[72:75]// 0000000080C8: D3E10048 1522D164
	ds_read_b128 a[152:155], v12 offset:6528                   // 0000000080D0: DBFE1980 9800000C
	ds_read_b128 a[156:159], v12 offset:7040                   // 0000000080D8: DBFE1B80 9C00000C
	v_mfma_f32_16x16x16_bf16 v[72:75], v[102:103], a[106:107], v[72:75]// 0000000080E0: D3E10048 1522D566
	v_fma_f32 v57, v57, s57, -v125                             // 0000000080E8: D1CB0039 85F47339
	v_fma_f32 v58, v58, s57, -v126                             // 0000000080F0: D1CB003A 85F8733A
	v_fma_f32 v59, v59, s57, -v127                             // 0000000080F8: D1CB003B 85FC733B
	v_mfma_f32_16x16x16_bf16 v[72:75], v[104:105], a[108:109], v[72:75]// 000000008100: D3E10048 1522D968
	v_exp_f32_e32 v48, v48                                     // 000000008108: 7E604130
	v_mfma_f32_16x16x16_bf16 v[72:75], v[106:107], a[110:111], v[72:75]// 00000000810C: D3E10048 1522DD6A
	v_exp_f32_e32 v49, v49                                     // 000000008114: 7E624131
	v_mfma_f32_16x16x16_bf16 v[76:79], v[92:93], a[112:113], 0 // 000000008118: D3E1004C 1202E15C
	ds_read_b64 v[136:137], v19 offset:24320                   // 000000008120: D8EC5F00 88000013
	ds_read_b64 v[138:139], v19 offset:26368                   // 000000008128: D8EC6700 8A000013
	v_mfma_f32_16x16x16_bf16 v[76:79], v[94:95], a[114:115], v[76:79]// 000000008130: D3E1004C 1532E55E
	v_exp_f32_e32 v50, v50                                     // 000000008138: 7E644132
	v_mfma_f32_16x16x16_bf16 v[76:79], v[96:97], a[116:117], v[76:79]// 00000000813C: D3E1004C 1532E960
	ds_read_b64 v[140:141], v19 offset:28416                   // 000000008144: D8EC6F00 8C000013
	ds_read_b64 v[142:143], v19 offset:30464                   // 00000000814C: D8EC7700 8E000013
	v_mfma_f32_16x16x16_bf16 v[76:79], v[98:99], a[118:119], v[76:79]// 000000008154: D3E1004C 1532ED62
	v_exp_f32_e32 v51, v51                                     // 00000000815C: 7E664133
	v_mfma_f32_16x16x16_bf16 v[76:79], v[100:101], a[120:121], v[76:79]// 000000008160: D3E1004C 1532F164
	v_exp_f32_e32 v52, v52                                     // 000000008168: 7E684134
	v_mfma_f32_16x16x16_bf16 v[76:79], v[102:103], a[122:123], v[76:79]// 00000000816C: D3E1004C 1532F566
	v_exp_f32_e32 v53, v53                                     // 000000008174: 7E6A4135
	v_mfma_f32_16x16x16_bf16 v[76:79], v[104:105], a[124:125], v[76:79]// 000000008178: D3E1004C 1532F968
	v_exp_f32_e32 v54, v54                                     // 000000008180: 7E6C4136
	v_mfma_f32_16x16x16_bf16 v[76:79], v[106:107], a[126:127], v[76:79]// 000000008184: D3E1004C 1532FD6A
	v_exp_f32_e32 v55, v55                                     // 00000000818C: 7E6E4137
	v_mfma_f32_16x16x16_bf16 v[80:83], v[92:93], a[128:129], 0 // 000000008190: D3E10050 1203015C
	v_exp_f32_e32 v56, v56                                     // 000000008198: 7E704138
	v_mfma_f32_16x16x16_bf16 v[80:83], v[94:95], a[130:131], v[80:83]// 00000000819C: D3E10050 1543055E
	v_exp_f32_e32 v57, v57                                     // 0000000081A4: 7E724139
	v_mfma_f32_16x16x16_bf16 v[80:83], v[96:97], a[132:133], v[80:83]// 0000000081A8: D3E10050 15430960
	v_exp_f32_e32 v58, v58                                     // 0000000081B0: 7E74413A
	v_mfma_f32_16x16x16_bf16 v[80:83], v[98:99], a[134:135], v[80:83]// 0000000081B4: D3E10050 15430D62
	v_exp_f32_e32 v59, v59                                     // 0000000081BC: 7E76413B
	v_mfma_f32_16x16x16_bf16 v[80:83], v[100:101], a[136:137], v[80:83]// 0000000081C0: D3E10050 15431164
	v_cmp_u_f32_e64 s[74:75], v48, v48                         // 0000000081C8: D048004A 00026130
	v_bfe_u32 v248, v48, 16, 1                                 // 0000000081D0: D1C800F8 02052130
	v_add3_u32 v248, v48, v248, v251                           // 0000000081D8: D1FF00F8 07EFF130
	v_cndmask_b32_e64 v28, v248, v250, s[74:75]                // 0000000081E0: D100001C 012BF5F8
	v_lshrrev_b32_e32 v28, 16, v28                             // 0000000081E8: 20383890
	v_cmp_u_f32_e64 s[74:75], v49, v49                         // 0000000081EC: D048004A 00026331
	v_bfe_u32 v248, v49, 16, 1                                 // 0000000081F4: D1C800F8 02052131
	v_add3_u32 v248, v49, v248, v251                           // 0000000081FC: D1FF00F8 07EFF131
	v_cndmask_b32_e64 v29, v248, v250, s[74:75]                // 000000008204: D100001D 012BF5F8
	v_and_or_b32 v144, v29, v249, v28                          // 00000000820C: D2010090 0473F31D
	v_cmp_u_f32_e64 s[74:75], v50, v50                         // 000000008214: D048004A 00026532
	v_bfe_u32 v248, v50, 16, 1                                 // 00000000821C: D1C800F8 02052132
	v_add3_u32 v248, v50, v248, v251                           // 000000008224: D1FF00F8 07EFF132
	v_cndmask_b32_e64 v28, v248, v250, s[74:75]                // 00000000822C: D100001C 012BF5F8
	v_lshrrev_b32_e32 v28, 16, v28                             // 000000008234: 20383890
	v_cmp_u_f32_e64 s[74:75], v51, v51                         // 000000008238: D048004A 00026733
	v_bfe_u32 v248, v51, 16, 1                                 // 000000008240: D1C800F8 02052133
	v_add3_u32 v248, v51, v248, v251                           // 000000008248: D1FF00F8 07EFF133
	v_cndmask_b32_e64 v29, v248, v250, s[74:75]                // 000000008250: D100001D 012BF5F8
	v_and_or_b32 v145, v29, v249, v28                          // 000000008258: D2010091 0473F31D
	v_cmp_u_f32_e64 s[74:75], v52, v52                         // 000000008260: D048004A 00026934
	v_bfe_u32 v248, v52, 16, 1                                 // 000000008268: D1C800F8 02052134
	v_add3_u32 v248, v52, v248, v251                           // 000000008270: D1FF00F8 07EFF134
	v_cndmask_b32_e64 v28, v248, v250, s[74:75]                // 000000008278: D100001C 012BF5F8
	v_lshrrev_b32_e32 v28, 16, v28                             // 000000008280: 20383890
	v_cmp_u_f32_e64 s[74:75], v53, v53                         // 000000008284: D048004A 00026B35
	v_bfe_u32 v248, v53, 16, 1                                 // 00000000828C: D1C800F8 02052135
	v_add3_u32 v248, v53, v248, v251                           // 000000008294: D1FF00F8 07EFF135
	v_cndmask_b32_e64 v29, v248, v250, s[74:75]                // 00000000829C: D100001D 012BF5F8
	v_and_or_b32 v146, v29, v249, v28                          // 0000000082A4: D2010092 0473F31D
	v_mfma_f32_16x16x16_bf16 v[80:83], v[102:103], a[138:139], v[80:83]// 0000000082AC: D3E10050 15431566
	v_cmp_u_f32_e64 s[74:75], v54, v54                         // 0000000082B4: D048004A 00026D36
	v_bfe_u32 v248, v54, 16, 1                                 // 0000000082BC: D1C800F8 02052136
	v_add3_u32 v248, v54, v248, v251                           // 0000000082C4: D1FF00F8 07EFF136
	v_cndmask_b32_e64 v28, v248, v250, s[74:75]                // 0000000082CC: D100001C 012BF5F8
	v_lshrrev_b32_e32 v28, 16, v28                             // 0000000082D4: 20383890
	v_cmp_u_f32_e64 s[74:75], v55, v55                         // 0000000082D8: D048004A 00026F37
	v_bfe_u32 v248, v55, 16, 1                                 // 0000000082E0: D1C800F8 02052137
	v_add3_u32 v248, v55, v248, v251                           // 0000000082E8: D1FF00F8 07EFF137
	v_cndmask_b32_e64 v29, v248, v250, s[74:75]                // 0000000082F0: D100001D 012BF5F8
	v_and_or_b32 v147, v29, v249, v28                          // 0000000082F8: D2010093 0473F31D
	v_cmp_u_f32_e64 s[74:75], v56, v56                         // 000000008300: D048004A 00027138
	v_bfe_u32 v248, v56, 16, 1                                 // 000000008308: D1C800F8 02052138
	v_add3_u32 v248, v56, v248, v251                           // 000000008310: D1FF00F8 07EFF138
	v_cndmask_b32_e64 v28, v248, v250, s[74:75]                // 000000008318: D100001C 012BF5F8
	v_lshrrev_b32_e32 v28, 16, v28                             // 000000008320: 20383890
	v_cmp_u_f32_e64 s[74:75], v57, v57                         // 000000008324: D048004A 00027339
	v_bfe_u32 v248, v57, 16, 1                                 // 00000000832C: D1C800F8 02052139
	v_add3_u32 v248, v57, v248, v251                           // 000000008334: D1FF00F8 07EFF139
	v_cndmask_b32_e64 v29, v248, v250, s[74:75]                // 00000000833C: D100001D 012BF5F8
	v_and_or_b32 v148, v29, v249, v28                          // 000000008344: D2010094 0473F31D
	v_cmp_u_f32_e64 s[74:75], v58, v58                         // 00000000834C: D048004A 0002753A
	v_bfe_u32 v248, v58, 16, 1                                 // 000000008354: D1C800F8 0205213A
	v_add3_u32 v248, v58, v248, v251                           // 00000000835C: D1FF00F8 07EFF13A
	v_cndmask_b32_e64 v28, v248, v250, s[74:75]                // 000000008364: D100001C 012BF5F8
	v_lshrrev_b32_e32 v28, 16, v28                             // 00000000836C: 20383890
	v_cmp_u_f32_e64 s[74:75], v59, v59                         // 000000008370: D048004A 0002773B
	v_bfe_u32 v248, v59, 16, 1                                 // 000000008378: D1C800F8 0205213B
	v_add3_u32 v248, v59, v248, v251                           // 000000008380: D1FF00F8 07EFF13B
	v_cndmask_b32_e64 v29, v248, v250, s[74:75]                // 000000008388: D100001D 012BF5F8
	v_and_or_b32 v149, v29, v249, v28                          // 000000008390: D2010095 0473F31D
	v_mfma_f32_16x16x16_bf16 v[80:83], v[104:105], a[140:141], v[80:83]// 000000008398: D3E10050 15431968
	v_add_u32_e32 v7, s66, v7                                  // 0000000083A0: 680E0E42
	v_add_u32_e32 v8, s66, v8                                  // 0000000083A4: 68101042
	v_mfma_f32_16x16x16_bf16 v[80:83], v[106:107], a[142:143], v[80:83]// 0000000083A8: D3E10050 15431D6A
	s_waitcnt lgkmcnt(0)                                       // 0000000083B0: BF8CC07F
	s_barrier                                                  // 0000000083B4: BF8A0000
	v_mfma_f32_16x16x16_bf16 v[152:155], v[108:109], v[144:145], v[152:155]// 0000000083B8: D3E10098 0663216C
	v_subrev_f32_dpp v72, v150, v72 quad_perm:[0,0,0,0] row_mask:0xf bank_mask:0xf// 0000000083C0: 069090FA FF000096
	v_subrev_f32_dpp v73, v150, v73 quad_perm:[1,1,1,1] row_mask:0xf bank_mask:0xf// 0000000083C8: 069292FA FF005596
	v_subrev_f32_dpp v74, v150, v74 quad_perm:[2,2,2,2] row_mask:0xf bank_mask:0xf// 0000000083D0: 069494FA FF00AA96
	v_mfma_f32_16x16x16_bf16 v[156:159], v[110:111], v[144:145], v[156:159]// 0000000083D8: D3E1009C 0673216E
	v_subrev_f32_dpp v75, v150, v75 quad_perm:[3,3,3,3] row_mask:0xf bank_mask:0xf// 0000000083E0: 069696FA FF00FF96
	v_subrev_f32_dpp v76, v150, v76 quad_perm:[0,0,0,0] row_mask:0xf bank_mask:0xf// 0000000083E8: 069898FA FF000096
	v_subrev_f32_dpp v77, v150, v77 quad_perm:[1,1,1,1] row_mask:0xf bank_mask:0xf// 0000000083F0: 069A9AFA FF005596
	v_mfma_f32_16x16x16_bf16 v[160:163], v[112:113], v[144:145], v[160:163]// 0000000083F8: D3E100A0 06832170
	v_mul_f32_e32 v72, v48, v72                                // 000000008400: 0A909130
	v_mul_f32_e32 v73, v49, v73                                // 000000008404: 0A929331
	v_mul_f32_e32 v74, v50, v74                                // 000000008408: 0A949532
	v_mfma_f32_16x16x16_bf16 v[164:167], v[114:115], v[144:145], v[164:167]// 00000000840C: D3E100A4 06932172
	v_mul_f32_e32 v75, v51, v75                                // 000000008414: 0A969733
	v_mul_f32_e32 v76, v52, v76                                // 000000008418: 0A989934
	v_mul_f32_e32 v77, v53, v77                                // 00000000841C: 0A9A9B35
	v_mfma_f32_16x16x16_bf16 v[168:171], v[116:117], v[144:145], v[168:171]// 000000008420: D3E100A8 06A32174
	v_cmp_u_f32_e64 s[74:75], v72, v72                         // 000000008428: D048004A 00029148
	v_bfe_u32 v248, v72, 16, 1                                 // 000000008430: D1C800F8 02052148
	v_add3_u32 v248, v72, v248, v251                           // 000000008438: D1FF00F8 07EFF148
	v_cndmask_b32_e64 v28, v248, v250, s[74:75]                // 000000008440: D100001C 012BF5F8
	v_lshrrev_b32_e32 v28, 16, v28                             // 000000008448: 20383890
	v_cmp_u_f32_e64 s[74:75], v73, v73                         // 00000000844C: D048004A 00029349
	v_bfe_u32 v248, v73, 16, 1                                 // 000000008454: D1C800F8 02052149
	v_add3_u32 v248, v73, v248, v251                           // 00000000845C: D1FF00F8 07EFF149
	v_cndmask_b32_e64 v29, v248, v250, s[74:75]                // 000000008464: D100001D 012BF5F8
	v_and_or_b32 v72, v29, v249, v28                           // 00000000846C: D2010048 0473F31D
	v_cmp_u_f32_e64 s[74:75], v74, v74                         // 000000008474: D048004A 0002954A
	v_bfe_u32 v248, v74, 16, 1                                 // 00000000847C: D1C800F8 0205214A
	v_add3_u32 v248, v74, v248, v251                           // 000000008484: D1FF00F8 07EFF14A
	v_cndmask_b32_e64 v28, v248, v250, s[74:75]                // 00000000848C: D100001C 012BF5F8
	v_lshrrev_b32_e32 v28, 16, v28                             // 000000008494: 20383890
	v_cmp_u_f32_e64 s[74:75], v75, v75                         // 000000008498: D048004A 0002974B
	v_bfe_u32 v248, v75, 16, 1                                 // 0000000084A0: D1C800F8 0205214B
	v_add3_u32 v248, v75, v248, v251                           // 0000000084A8: D1FF00F8 07EFF14B
	v_cndmask_b32_e64 v29, v248, v250, s[74:75]                // 0000000084B0: D100001D 012BF5F8
	v_and_or_b32 v73, v29, v249, v28                           // 0000000084B8: D2010049 0473F31D
	v_cmp_u_f32_e64 s[74:75], v76, v76                         // 0000000084C0: D048004A 0002994C
	v_bfe_u32 v248, v76, 16, 1                                 // 0000000084C8: D1C800F8 0205214C
	v_add3_u32 v248, v76, v248, v251                           // 0000000084D0: D1FF00F8 07EFF14C
	v_cndmask_b32_e64 v28, v248, v250, s[74:75]                // 0000000084D8: D100001C 012BF5F8
	v_lshrrev_b32_e32 v28, 16, v28                             // 0000000084E0: 20383890
	v_cmp_u_f32_e64 s[74:75], v77, v77                         // 0000000084E4: D048004A 00029B4D
	v_bfe_u32 v248, v77, 16, 1                                 // 0000000084EC: D1C800F8 0205214D
	v_add3_u32 v248, v77, v248, v251                           // 0000000084F4: D1FF00F8 07EFF14D
	v_cndmask_b32_e64 v29, v248, v250, s[74:75]                // 0000000084FC: D100001D 012BF5F8
	v_and_or_b32 v74, v29, v249, v28                           // 000000008504: D201004A 0473F31D
	v_mfma_f32_16x16x16_bf16 v[172:175], v[118:119], v[144:145], v[172:175]// 00000000850C: D3E100AC 06B32176
	v_mov_b32_dpp v16, v72 quad_perm:[1,0,3,2] row_mask:0xf bank_mask:0xf// 000000008514: 7E2002FA FF00B148
	v_perm_b32 v48, v16, v72, v15                              // 00000000851C: D1ED0030 043E9110
	v_mov_b32_dpp v16, v73 quad_perm:[1,0,3,2] row_mask:0xf bank_mask:0xf// 000000008524: 7E2002FA FF00B149
	v_mfma_f32_16x16x16_bf16 v[176:179], v[120:121], v[144:145], v[176:179]// 00000000852C: D3E100B0 06C32178
	v_perm_b32 v49, v16, v73, v15                              // 000000008534: D1ED0031 043E9310
	v_mov_b32_dpp v16, v74 quad_perm:[1,0,3,2] row_mask:0xf bank_mask:0xf// 00000000853C: 7E2002FA FF00B14A
	v_perm_b32 v50, v16, v74, v15                              // 000000008544: D1ED0032 043E9510
	v_mfma_f32_16x16x16_bf16 v[180:183], v[122:123], v[144:145], v[180:183]// 00000000854C: D3E100B4 06D3217A
	ds_write_b32 v18, v48 offset:17408                         // 000000008554: D81A4400 00003012
	v_mfma_f32_16x16x16_bf16 v[184:187], v[108:109], v[146:147], v[184:187]// 00000000855C: D3E100B8 06E3256C
	v_subrev_f32_dpp v78, v150, v78 quad_perm:[2,2,2,2] row_mask:0xf bank_mask:0xf// 000000008564: 069C9CFA FF00AA96
	v_subrev_f32_dpp v79, v150, v79 quad_perm:[3,3,3,3] row_mask:0xf bank_mask:0xf// 00000000856C: 069E9EFA FF00FF96
	v_subrev_f32_dpp v80, v150, v80 quad_perm:[0,0,0,0] row_mask:0xf bank_mask:0xf// 000000008574: 06A0A0FA FF000096
	v_mfma_f32_16x16x16_bf16 v[188:191], v[110:111], v[146:147], v[188:191]// 00000000857C: D3E100BC 06F3256E
	ds_write_b32 v18, v49 offset:17952                         // 000000008584: D81A4620 00003112
	v_mfma_f32_16x16x16_bf16 v[192:195], v[112:113], v[146:147], v[192:195]// 00000000858C: D3E100C0 07032570
	v_subrev_f32_dpp v81, v150, v81 quad_perm:[1,1,1,1] row_mask:0xf bank_mask:0xf// 000000008594: 06A2A2FA FF005596
	v_subrev_f32_dpp v82, v150, v82 quad_perm:[2,2,2,2] row_mask:0xf bank_mask:0xf// 00000000859C: 06A4A4FA FF00AA96
	v_subrev_f32_dpp v83, v150, v83 quad_perm:[3,3,3,3] row_mask:0xf bank_mask:0xf// 0000000085A4: 06A6A6FA FF00FF96
	v_mfma_f32_16x16x16_bf16 v[196:199], v[114:115], v[146:147], v[196:199]// 0000000085AC: D3E100C4 07132572
	ds_write_b32 v18, v50 offset:19712                         // 0000000085B4: D81A4D00 00003212
	v_mfma_f32_16x16x16_bf16 v[200:203], v[116:117], v[146:147], v[200:203]// 0000000085BC: D3E100C8 07232574
	v_mul_f32_e32 v78, v54, v78                                // 0000000085C4: 0A9C9D36
	v_mul_f32_e32 v79, v55, v79                                // 0000000085C8: 0A9E9F37
	v_mul_f32_e32 v80, v56, v80                                // 0000000085CC: 0AA0A138
	v_mfma_f32_16x16x16_bf16 v[204:207], v[118:119], v[146:147], v[204:207]// 0000000085D0: D3E100CC 07332576
	v_mul_f32_e32 v81, v57, v81                                // 0000000085D8: 0AA2A339
	v_mul_f32_e32 v82, v58, v82                                // 0000000085DC: 0AA4A53A
	v_mul_f32_e32 v83, v59, v83                                // 0000000085E0: 0AA6A73B
	v_mfma_f32_16x16x16_bf16 v[208:211], v[120:121], v[146:147], v[208:211]// 0000000085E4: D3E100D0 07432578
	v_cmp_u_f32_e64 s[74:75], v78, v78                         // 0000000085EC: D048004A 00029D4E
	v_bfe_u32 v248, v78, 16, 1                                 // 0000000085F4: D1C800F8 0205214E
	v_add3_u32 v248, v78, v248, v251                           // 0000000085FC: D1FF00F8 07EFF14E
	v_cndmask_b32_e64 v28, v248, v250, s[74:75]                // 000000008604: D100001C 012BF5F8
	v_lshrrev_b32_e32 v28, 16, v28                             // 00000000860C: 20383890
	v_cmp_u_f32_e64 s[74:75], v79, v79                         // 000000008610: D048004A 00029F4F
	v_bfe_u32 v248, v79, 16, 1                                 // 000000008618: D1C800F8 0205214F
	v_add3_u32 v248, v79, v248, v251                           // 000000008620: D1FF00F8 07EFF14F
	v_cndmask_b32_e64 v29, v248, v250, s[74:75]                // 000000008628: D100001D 012BF5F8
	v_and_or_b32 v75, v29, v249, v28                           // 000000008630: D201004B 0473F31D
	v_cmp_u_f32_e64 s[74:75], v80, v80                         // 000000008638: D048004A 0002A150
	v_bfe_u32 v248, v80, 16, 1                                 // 000000008640: D1C800F8 02052150
	v_add3_u32 v248, v80, v248, v251                           // 000000008648: D1FF00F8 07EFF150
	v_cndmask_b32_e64 v28, v248, v250, s[74:75]                // 000000008650: D100001C 012BF5F8
	v_lshrrev_b32_e32 v28, 16, v28                             // 000000008658: 20383890
	v_cmp_u_f32_e64 s[74:75], v81, v81                         // 00000000865C: D048004A 0002A351
	v_bfe_u32 v248, v81, 16, 1                                 // 000000008664: D1C800F8 02052151
	v_add3_u32 v248, v81, v248, v251                           // 00000000866C: D1FF00F8 07EFF151
	v_cndmask_b32_e64 v29, v248, v250, s[74:75]                // 000000008674: D100001D 012BF5F8
	v_and_or_b32 v76, v29, v249, v28                           // 00000000867C: D201004C 0473F31D
	v_cmp_u_f32_e64 s[74:75], v82, v82                         // 000000008684: D048004A 0002A552
	v_bfe_u32 v248, v82, 16, 1                                 // 00000000868C: D1C800F8 02052152
	v_add3_u32 v248, v82, v248, v251                           // 000000008694: D1FF00F8 07EFF152
	v_cndmask_b32_e64 v28, v248, v250, s[74:75]                // 00000000869C: D100001C 012BF5F8
	v_lshrrev_b32_e32 v28, 16, v28                             // 0000000086A4: 20383890
	v_cmp_u_f32_e64 s[74:75], v83, v83                         // 0000000086A8: D048004A 0002A753
	v_bfe_u32 v248, v83, 16, 1                                 // 0000000086B0: D1C800F8 02052153
	v_add3_u32 v248, v83, v248, v251                           // 0000000086B8: D1FF00F8 07EFF153
	v_cndmask_b32_e64 v29, v248, v250, s[74:75]                // 0000000086C0: D100001D 012BF5F8
	v_and_or_b32 v77, v29, v249, v28                           // 0000000086C8: D201004D 0473F31D
	v_mfma_f32_16x16x16_bf16 v[212:215], v[122:123], v[146:147], v[212:215]// 0000000086D0: D3E100D4 0753257A
	v_mov_b32_dpp v16, v75 quad_perm:[1,0,3,2] row_mask:0xf bank_mask:0xf// 0000000086D8: 7E2002FA FF00B14B
	v_perm_b32 v51, v16, v75, v15                              // 0000000086E0: D1ED0033 043E9710
	v_mov_b32_dpp v16, v76 quad_perm:[1,0,3,2] row_mask:0xf bank_mask:0xf// 0000000086E8: 7E2002FA FF00B14C
	v_mfma_f32_16x16x16_bf16 v[216:219], v[108:109], v[148:149], v[216:219]// 0000000086F0: D3E100D8 0763296C
	v_perm_b32 v52, v16, v76, v15                              // 0000000086F8: D1ED0034 043E9910
	v_mov_b32_dpp v16, v77 quad_perm:[1,0,3,2] row_mask:0xf bank_mask:0xf// 000000008700: 7E2002FA FF00B14D
	v_perm_b32 v53, v16, v77, v15                              // 000000008708: D1ED0035 043E9B10
	v_mfma_f32_16x16x16_bf16 v[220:223], v[110:111], v[148:149], v[220:223]// 000000008710: D3E100DC 0773296E
	ds_write_b32 v18, v51 offset:20256                         // 000000008718: D81A4F20 00003312
	v_mfma_f32_16x16x16_bf16 v[224:227], v[112:113], v[148:149], v[224:227]// 000000008720: D3E100E0 07832970
	v_mfma_f32_16x16x16_bf16 v[228:231], v[114:115], v[148:149], v[228:231]// 000000008728: D3E100E4 07932972
	ds_write_b32 v18, v52 offset:22016                         // 000000008730: D81A5600 00003412
	ds_write_b32 v18, v53 offset:22560                         // 000000008738: D81A5820 00003512
	v_mfma_f32_16x16x16_bf16 v[232:235], v[116:117], v[148:149], v[232:235]// 000000008740: D3E100E8 07A32974
	v_mfma_f32_16x16x16_bf16 v[236:239], v[118:119], v[148:149], v[236:239]// 000000008748: D3E100EC 07B32976
	ds_write_b32 v13, v84 offset:4352                          // 000000008750: D81A1100 0000540D
	ds_write_b32 v13, v85 offset:5408                          // 000000008758: D81A1520 0000550D
	v_mfma_f32_16x16x16_bf16 v[240:243], v[120:121], v[148:149], v[240:243]// 000000008760: D3E100F0 07C32978
	s_nop 0                                                    // 000000008768: BF800000
	s_nop 0                                                    // 00000000876C: BF800000
	s_nop 0                                                    // 000000008770: BF800000
	v_mfma_f32_16x16x16_bf16 v[244:247], v[122:123], v[148:149], v[244:247]// 000000008774: D3E100F4 07D3297A
	ds_write_b32 v13, v86 offset:4480                          // 00000000877C: D81A1180 0000560D
	ds_write_b32 v13, v87 offset:5536                          // 000000008784: D81A15A0 0000570D
	s_barrier                                                  // 00000000878C: BF8A0000
	v_mfma_f32_16x16x16_bf16 a[160:163], a[144:145], v[72:73], a[160:163]// 000000008790: D3E180A0 0E829190
	buffer_atomic_add_f32 v136, v7, s[32:35], 0 offen          // 000000008798: E1341000 80088807
	v_mfma_f32_16x16x16_bf16 a[164:167], a[146:147], v[72:73], a[164:167]// 0000000087A0: D3E180A4 0E929192
	ds_read_b32 v124, v21 offset:50688                         // 0000000087A8: D86CC600 7C000015
	ds_read_b32 v150, v21 offset:50944                         // 0000000087B0: D86CC700 96000015
	v_mfma_f32_16x16x16_bf16 a[168:171], a[148:149], v[72:73], a[168:171]// 0000000087B8: D3E180A8 0EA29194
	s_waitcnt lgkmcnt(6)                                       // 0000000087C0: BF8CC67F
	s_barrier                                                  // 0000000087C4: BF8A0000
	v_mfma_f32_16x16x16_bf16 a[172:175], a[150:151], v[72:73], a[172:175]// 0000000087C8: D3E180AC 0EB29196
	ds_read_b128 v[48:51], v17 offset:17408                    // 0000000087D0: D9FE4400 30000011
	v_mfma_f32_16x16x16_bf16 a[176:179], a[152:153], v[72:73], a[176:179]// 0000000087D8: D3E180B0 0EC29198
	v_mfma_f32_16x16x16_bf16 a[180:183], a[154:155], v[72:73], a[180:183]// 0000000087E0: D3E180B4 0ED2919A
	ds_read_b128 v[52:55], v17 offset:18560                    // 0000000087E8: D9FE4880 34000011
	v_mfma_f32_16x16x16_bf16 a[184:187], a[156:157], v[72:73], a[184:187]// 0000000087F0: D3E180B8 0EE2919C
	buffer_atomic_add_f32 v137, v8, s[32:35], 0 offen          // 0000000087F8: E1341000 80088908
	v_mfma_f32_16x16x16_bf16 a[188:191], a[158:159], v[72:73], a[188:191]// 000000008800: D3E180BC 0EF2919E
	ds_read_b128 v[56:59], v17 offset:19712                    // 000000008808: D9FE4D00 38000011
	v_mfma_f32_16x16x16_bf16 a[192:195], a[144:145], v[74:75], a[192:195]// 000000008810: D3E180C0 0F029590
	v_mfma_f32_16x16x16_bf16 a[196:199], a[146:147], v[74:75], a[196:199]// 000000008818: D3E180C4 0F129592
	ds_read_b128 v[60:63], v17 offset:20864                    // 000000008820: D9FE5180 3C000011
	v_mfma_f32_16x16x16_bf16 a[200:203], a[148:149], v[74:75], a[200:203]// 000000008828: D3E180C8 0F229594
	v_mfma_f32_16x16x16_bf16 a[204:207], a[150:151], v[74:75], a[204:207]// 000000008830: D3E180CC 0F329596
	ds_read_b128 v[64:67], v17 offset:22016                    // 000000008838: D9FE5600 40000011
	v_mfma_f32_16x16x16_bf16 a[208:211], a[152:153], v[74:75], a[208:211]// 000000008840: D3E180D0 0F429598
	buffer_atomic_add_f32 v138, v7, s[32:35], 0 offen offset:128// 000000008848: E1341080 80088A07
	v_mfma_f32_16x16x16_bf16 a[212:215], a[154:155], v[74:75], a[212:215]// 000000008850: D3E180D4 0F52959A
	ds_read_b128 v[68:71], v17 offset:23168                    // 000000008858: D9FE5A80 44000011
	v_mfma_f32_16x16x16_bf16 a[216:219], a[156:157], v[74:75], a[216:219]// 000000008860: D3E180D8 0F62959C
	v_mfma_f32_16x16x16_bf16 a[220:223], a[158:159], v[74:75], a[220:223]// 000000008868: D3E180DC 0F72959E
	ds_write_b32 v13, v88 offset:13056                         // 000000008870: D81A3300 0000580D
	v_mfma_f32_16x16x16_bf16 a[224:227], a[144:145], v[76:77], a[224:227]// 000000008878: D3E180E0 0F829990
	v_mfma_f32_16x16x16_bf16 a[228:231], a[146:147], v[76:77], a[228:231]// 000000008880: D3E180E4 0F929992
	ds_write_b32 v13, v89 offset:14112                         // 000000008888: D81A3720 0000590D
	v_mfma_f32_16x16x16_bf16 a[232:235], a[148:149], v[76:77], a[232:235]// 000000008890: D3E180E8 0FA29994
	buffer_atomic_add_f32 v139, v8, s[32:35], 0 offen offset:128// 000000008898: E1341080 80088B08
	v_mfma_f32_16x16x16_bf16 a[236:239], a[150:151], v[76:77], a[236:239]// 0000000088A0: D3E180EC 0FB29996
	ds_write_b32 v13, v90 offset:13184                         // 0000000088A8: D81A3380 00005A0D
	v_mfma_f32_16x16x16_bf16 a[240:243], a[152:153], v[76:77], a[240:243]// 0000000088B0: D3E180F0 0FC29998
	v_mfma_f32_16x16x16_bf16 a[244:247], a[154:155], v[76:77], a[244:247]// 0000000088B8: D3E180F4 0FD2999A
	ds_write_b32 v13, v91 offset:14240                         // 0000000088C0: D81A37A0 00005B0D
	v_mfma_f32_16x16x16_bf16 a[248:251], a[156:157], v[76:77], a[248:251]// 0000000088C8: D3E180F8 0FE2999C
	v_mfma_f32_16x16x16_bf16 a[252:255], a[158:159], v[76:77], a[252:255]// 0000000088D0: D3E180FC 0FF2999E
	s_waitcnt vmcnt(8) lgkmcnt(4)                              // 0000000088D8: BF8C0478
	s_barrier                                                  // 0000000088DC: BF8A0000
	v_mfma_f32_16x16x16_bf16 v[128:131], v[48:49], a[48:49], 0 // 0000000088E0: D3E10080 12026130
	v_cmp_eq_u32_e32 vcc, v124, v151                           // 0000000088E8: 7D952F7C
	v_mov_b32_e32 v28, 0                                       // 0000000088EC: 7E380280
	v_cndmask_b32_e32 v124, v124, v28, vcc                     // 0000000088F0: 00F8397C
	v_mul_f32_e32 v124, s48, v124                              // 0000000088F4: 0AF8F830
	s_nop 0                                                    // 0000000088F8: BF800000
	v_mfma_f32_16x16x16_bf16 v[128:131], v[50:51], a[52:53], v[128:131]// 0000000088FC: D3E10080 16026932
	ds_read_b128 a[144:147], v10                               // 000000008904: DBFE0000 9000000A
	v_mov_b32_e32 v32, 0                                       // 00000000890C: 7E400280
	s_mov_b64 exec, s[88:89]                                   // 000000008910: BEFE0158
	buffer_load_dword v32, v1, s[8:11], 0 idxen                // 000000008914: E0502000 80022001
	s_mov_b64 exec, s[86:87]                                   // 00000000891C: BEFE0156
	v_mfma_f32_16x16x16_bf16 v[128:131], v[52:53], a[56:57], v[128:131]// 000000008920: D3E10080 16027134
	v_mfma_f32_16x16x16_bf16 v[128:131], v[54:55], a[60:61], v[128:131]// 000000008928: D3E10080 16027936
	ds_read_b128 a[148:151], v10 offset:512                    // 000000008930: DBFE0200 9400000A
	v_mov_b32_e32 v33, 0                                       // 000000008938: 7E420280
	s_mov_b64 exec, s[88:89]                                   // 00000000893C: BEFE0158
	buffer_load_dword v33, v2, s[8:11], 0 idxen                // 000000008940: E0502000 80022102
	s_mov_b64 exec, s[86:87]                                   // 000000008948: BEFE0156
	v_mfma_f32_16x16x16_bf16 v[128:131], v[56:57], a[64:65], v[128:131]// 00000000894C: D3E10080 16028138
	v_perm_b32 v84, v37, v36, s63                              // 000000008954: D1ED0054 00FE4925
	v_perm_b32 v85, v37, v36, s64                              // 00000000895C: D1ED0055 01024925
	v_mfma_f32_16x16x16_bf16 v[128:131], v[58:59], a[68:69], v[128:131]// 000000008964: D3E10080 1602893A
	ds_read_b128 a[152:155], v10 offset:2176                   // 00000000896C: DBFE0880 9800000A
	v_mov_b32_e32 v34, 0                                       // 000000008974: 7E440280
	s_mov_b64 exec, s[88:89]                                   // 000000008978: BEFE0158
	buffer_load_dword v34, v3, s[8:11], 0 idxen                // 00000000897C: E0502000 80022203
	s_mov_b64 exec, s[86:87]                                   // 000000008984: BEFE0156
	v_mfma_f32_16x16x16_bf16 v[128:131], v[60:61], a[72:73], v[128:131]// 000000008988: D3E10080 1602913C
	v_perm_b32 v86, v39, v38, s63                              // 000000008990: D1ED0056 00FE4D27
	v_perm_b32 v87, v39, v38, s64                              // 000000008998: D1ED0057 01024D27
	v_mfma_f32_16x16x16_bf16 v[128:131], v[62:63], a[76:77], v[128:131]// 0000000089A0: D3E10080 1602993E
	ds_read_b128 a[156:159], v10 offset:2688                   // 0000000089A8: DBFE0A80 9C00000A
	v_mov_b32_e32 v35, 0                                       // 0000000089B0: 7E460280
	s_mov_b64 exec, s[88:89]                                   // 0000000089B4: BEFE0158
	buffer_load_dword v35, v4, s[8:11], 0 idxen                // 0000000089B8: E0502000 80022304
	s_mov_b64 exec, s[86:87]                                   // 0000000089C0: BEFE0156
	v_mfma_f32_16x16x16_bf16 v[128:131], v[64:65], a[80:81], v[128:131]// 0000000089C4: D3E10080 1602A140
	v_perm_b32 v88, v45, v44, s63                              // 0000000089CC: D1ED0058 00FE592D
	v_perm_b32 v89, v45, v44, s64                              // 0000000089D4: D1ED0059 0102592D
	v_mfma_f32_16x16x16_bf16 v[128:131], v[66:67], a[84:85], v[128:131]// 0000000089DC: D3E10080 1602A942
	ds_read_b128 v[92:95], v10 offset:8704                     // 0000000089E4: D9FE2200 5C00000A
	v_mov_b32_e32 v40, 0                                       // 0000000089EC: 7E500280
	s_mov_b64 exec, s[88:89]                                   // 0000000089F0: BEFE0158
	buffer_load_dword v40, v252, s[20:23], 0 idxen             // 0000000089F4: E0502000 800528FC
	s_mov_b64 exec, s[86:87]                                   // 0000000089FC: BEFE0156
	v_mfma_f32_16x16x16_bf16 v[128:131], v[68:69], a[88:89], v[128:131]// 000000008A00: D3E10080 1602B144
	v_perm_b32 v90, v47, v46, s63                              // 000000008A08: D1ED005A 00FE5D2F
	v_perm_b32 v91, v47, v46, s64                              // 000000008A10: D1ED005B 01025D2F
	v_mfma_f32_16x16x16_bf16 v[128:131], v[70:71], a[92:93], v[128:131]// 000000008A18: D3E10080 1602B946
	ds_read_b128 v[96:99], v10 offset:9216                     // 000000008A20: D9FE2400 6000000A
	v_mov_b32_e32 v41, 0                                       // 000000008A28: 7E520280
	s_mov_b64 exec, s[88:89]                                   // 000000008A2C: BEFE0158
	buffer_load_dword v41, v253, s[20:23], 0 idxen             // 000000008A30: E0502000 800529FD
	s_mov_b64 exec, s[86:87]                                   // 000000008A38: BEFE0156
	v_mfma_f32_16x16x16_bf16 v[132:135], v[48:49], a[50:51], 0 // 000000008A3C: D3E10084 12026530
	v_mov_b32_dpp v127, v124 quad_perm:[3,3,3,3] row_mask:0xf bank_mask:0xf// 000000008A44: 7EFE02FA FF00FF7C
	v_mov_b32_dpp v126, v124 quad_perm:[2,2,2,2] row_mask:0xf bank_mask:0xf// 000000008A4C: 7EFC02FA FF00AA7C
	v_mfma_f32_16x16x16_bf16 v[132:135], v[50:51], a[54:55], v[132:135]// 000000008A54: D3E10084 16126D32
	ds_read_b128 v[100:103], v10 offset:10880                  // 000000008A5C: D9FE2A80 6400000A
	v_mov_b32_e32 v42, 0                                       // 000000008A64: 7E540280
	s_mov_b64 exec, s[88:89]                                   // 000000008A68: BEFE0158
	buffer_load_dword v42, v254, s[20:23], 0 idxen             // 000000008A6C: E0502000 80052AFE
	s_mov_b64 exec, s[86:87]                                   // 000000008A74: BEFE0156
	v_mfma_f32_16x16x16_bf16 v[132:135], v[52:53], a[58:59], v[132:135]// 000000008A78: D3E10084 16127534
	v_mov_b32_dpp v125, v124 quad_perm:[1,1,1,1] row_mask:0xf bank_mask:0xf// 000000008A80: 7EFA02FA FF00557C
	v_mov_b32_dpp v124, v124 quad_perm:[0,0,0,0] row_mask:0xf bank_mask:0xf// 000000008A88: 7EF802FA FF00007C
	s_add_u32 s60, 64, s59                                     // 000000008A90: 803C3BC0
	v_mfma_f32_16x16x16_bf16 v[132:135], v[54:55], a[62:63], v[132:135]// 000000008A94: D3E10084 16127D36
	ds_read_b128 v[104:107], v10 offset:11392                  // 000000008A9C: D9FE2C80 6800000A
	v_mov_b32_e32 v43, 0                                       // 000000008AA4: 7E560280
	s_mov_b64 exec, s[88:89]                                   // 000000008AA8: BEFE0158
	buffer_load_dword v43, v255, s[20:23], 0 idxen             // 000000008AAC: E0502000 80052BFF
	s_mov_b64 exec, s[86:87]                                   // 000000008AB4: BEFE0156
	v_mfma_f32_16x16x16_bf16 v[132:135], v[56:57], a[66:67], v[132:135]// 000000008AB8: D3E10084 16128538
	s_cmp_lt_u32 s60, s58                                      // 000000008AC0: BF0A3A3C
	s_cselect_b32 s68, s68, 0                                  // 000000008AC4: 85448044
	s_cselect_b32 s97, s97, 0                                  // 000000008AC8: 85618061
	s_cselect_b32 s69, s69, 0                                  // 000000008ACC: 85458045
	v_mfma_f32_16x16x16_bf16 v[132:135], v[58:59], a[70:71], v[132:135]// 000000008AD0: D3E10084 16128D3A
	buffer_load_dword v9, s[24:27], 0 idxen lds                // 000000008AD8: E0512000 80060009
	v_mfma_f32_16x16x16_bf16 v[132:135], v[60:61], a[74:75], v[132:135]// 000000008AE0: D3E10084 1612953C
	v_add_u32_e32 v1, s68, v1                                  // 000000008AE8: 68020244
	v_add_u32_e32 v2, s68, v2                                  // 000000008AEC: 68040444
	v_add_u32_e32 v3, s68, v3                                  // 000000008AF0: 68060644
	v_add_u32_e32 v4, s68, v4                                  // 000000008AF4: 68080844
	v_mfma_f32_16x16x16_bf16 v[132:135], v[62:63], a[78:79], v[132:135]// 000000008AF8: D3E10084 16129D3E
	v_add_u32_e32 v252, s97, v252                              // 000000008B00: 69F9F861
	v_add_u32_e32 v253, s97, v253                              // 000000008B04: 69FBFA61
	v_add_u32_e32 v254, s97, v254                              // 000000008B08: 69FDFC61
	v_add_u32_e32 v255, s97, v255                              // 000000008B0C: 69FFFE61
	v_mfma_f32_16x16x16_bf16 v[132:135], v[64:65], a[82:83], v[132:135]// 000000008B10: D3E10084 1612A540
	s_mov_b32 m0, s77                                          // 000000008B18: BEFC004D
	v_add_u32_e32 v9, s69, v9                                  // 000000008B1C: 68121245
	v_mfma_f32_16x16x16_bf16 v[132:135], v[66:67], a[86:87], v[132:135]// 000000008B20: D3E10084 1612AD42
	s_cmp_ge_u32 s59, s101                                     // 000000008B28: BF09653B
	s_cselect_b32 s66, s67, s66                                // 000000008B2C: 85424243
	v_mfma_f32_16x16x16_bf16 v[132:135], v[68:69], a[90:91], v[132:135]// 000000008B30: D3E10084 1612B544
	s_addk_i32 s59, 0x10                                       // 000000008B38: B73B0010
	s_nop 0                                                    // 000000008B3C: BF800000
	s_cmp_lt_i32 s59, s58                                      // 000000008B40: BF043A3B
	v_mfma_f32_16x16x16_bf16 v[132:135], v[70:71], a[94:95], v[132:135]// 000000008B44: D3E10084 1612BD46
	s_cbranch_scc0 label_1361                                  // 000000008B4C: BF840001
	s_branch label_09EA                                        // 000000008B50: BF82F695

0000000000008b54 <label_1361>:
	s_nop 0                                                    // 000000008B54: BF800000
	s_nop 0                                                    // 000000008B58: BF800000
	s_branch label_1CDB                                        // 000000008B5C: BF82096B

0000000000008b60 <label_1364>:
	s_waitcnt lgkmcnt(0)                                       // 000000008B60: BF8CC07F
	s_barrier                                                  // 000000008B64: BF8A0000
	v_mfma_f32_16x16x16_bf16 v[48:51], a[144:145], a[0:1], 0   // 000000008B68: D3E10030 1A020190
	v_mul_f32_e32 v128, s47, v128                              // 000000008B70: 0B01002F
	v_mul_f32_e32 v129, s47, v129                              // 000000008B74: 0B03022F
	v_mfma_f32_16x16x16_bf16 v[48:51], a[146:147], a[2:3], v[48:51]// 000000008B78: D3E10030 1CC20592
	ds_write_b32 v11, v44 offset:8704                          // 000000008B80: D81A2200 00002C0B
	ds_write_b32 v11, v45 offset:9760                          // 000000008B88: D81A2620 00002D0B
	v_mfma_f32_16x16x16_bf16 v[48:51], a[148:149], a[4:5], v[48:51]// 000000008B90: D3E10030 1CC20994
	v_mul_f32_e32 v130, s47, v130                              // 000000008B98: 0B05042F
	v_mul_f32_e32 v131, s47, v131                              // 000000008B9C: 0B07062F
	v_mfma_f32_16x16x16_bf16 v[48:51], a[150:151], a[6:7], v[48:51]// 000000008BA0: D3E10030 1CC20D96
	ds_write_b32 v11, v46 offset:8832                          // 000000008BA8: D81A2280 00002E0B
	ds_write_b32 v11, v47 offset:9888                          // 000000008BB0: D81A26A0 00002F0B
	v_mfma_f32_16x16x16_bf16 v[48:51], a[152:153], a[8:9], v[48:51]// 000000008BB8: D3E10030 1CC21198
	v_mul_f32_e32 v132, s47, v132                              // 000000008BC0: 0B09082F
	v_mul_f32_e32 v133, s47, v133                              // 000000008BC4: 0B0B0A2F
	v_mfma_f32_16x16x16_bf16 v[48:51], a[154:155], a[10:11], v[48:51]// 000000008BC8: D3E10030 1CC2159A
	ds_write_b64 v20, v[128:129] offset:24320                  // 000000008BD0: D89A5F00 00008014
	v_mfma_f32_16x16x16_bf16 v[48:51], a[156:157], a[12:13], v[48:51]// 000000008BD8: D3E10030 1CC2199C
	v_mul_f32_e32 v134, s47, v134                              // 000000008BE0: 0B0D0C2F
	v_mul_f32_e32 v135, s47, v135                              // 000000008BE4: 0B0F0E2F
	v_mfma_f32_16x16x16_bf16 v[48:51], a[158:159], a[14:15], v[48:51]// 000000008BE8: D3E10030 1CC21D9E
	ds_write_b64 v20, v[130:131] offset:24832                  // 000000008BF0: D89A6100 00008214
	v_mfma_f32_16x16x16_bf16 v[52:55], a[144:145], a[16:17], 0 // 000000008BF8: D3E10034 1A022190
	buffer_atomic_add_f32 v140, v7, s[32:35], 0 offen offset:256// 000000008C00: E1341100 80088C07
	v_mfma_f32_16x16x16_bf16 v[52:55], a[146:147], a[18:19], v[52:55]// 000000008C08: D3E10034 1CD22592
	ds_write_b64 v20, v[132:133] offset:25344                  // 000000008C10: D89A6300 00008414
	v_mfma_f32_16x16x16_bf16 v[52:55], a[148:149], a[20:21], v[52:55]// 000000008C18: D3E10034 1CD22994
	v_mfma_f32_16x16x16_bf16 v[52:55], a[150:151], a[22:23], v[52:55]// 000000008C20: D3E10034 1CD22D96
	ds_write_b64 v20, v[134:135] offset:25856                  // 000000008C28: D89A6500 00008614
	v_mfma_f32_16x16x16_bf16 v[52:55], a[152:153], a[24:25], v[52:55]// 000000008C30: D3E10034 1CD23198
	buffer_atomic_add_f32 v141, v8, s[32:35], 0 offen offset:256// 000000008C38: E1341100 80088D08
	v_mfma_f32_16x16x16_bf16 v[52:55], a[154:155], a[26:27], v[52:55]// 000000008C40: D3E10034 1CD2359A
	ds_read_b128 v[108:111], v12 offset:13056                  // 000000008C48: D9FE3300 6C00000C
	ds_write_b32 v11, v36                                      // 000000008C50: D81A0000 0000240B
	v_mfma_f32_16x16x16_bf16 v[52:55], a[156:157], a[28:29], v[52:55]// 000000008C58: D3E10034 1CD2399C
	v_mfma_f32_16x16x16_bf16 v[52:55], a[158:159], a[30:31], v[52:55]// 000000008C60: D3E10034 1CD23D9E
	v_mfma_f32_16x16x16_bf16 v[56:59], a[144:145], a[32:33], 0 // 000000008C68: D3E10038 1A024190
	ds_read_b128 v[112:115], v12 offset:13568                  // 000000008C70: D9FE3500 7000000C
	ds_write_b32 v11, v37 offset:1056                          // 000000008C78: D81A0420 0000250B
	v_mfma_f32_16x16x16_bf16 v[56:59], a[146:147], a[34:35], v[56:59]// 000000008C80: D3E10038 1CE24592
	buffer_atomic_add_f32 v142, v7, s[32:35], 0 offen offset:384// 000000008C88: E1341180 80088E07
	v_mfma_f32_16x16x16_bf16 v[56:59], a[148:149], a[36:37], v[56:59]// 000000008C90: D3E10038 1CE24994
	v_mfma_f32_16x16x16_bf16 v[56:59], a[150:151], a[38:39], v[56:59]// 000000008C98: D3E10038 1CE24D96
	ds_read_b128 v[116:119], v12 offset:15232                  // 000000008CA0: D9FE3B80 7400000C
	ds_write_b32 v11, v38 offset:128                           // 000000008CA8: D81A0080 0000260B
	v_mfma_f32_16x16x16_bf16 v[56:59], a[152:153], a[40:41], v[56:59]// 000000008CB0: D3E10038 1CE25198
	v_mfma_f32_16x16x16_bf16 v[56:59], a[154:155], a[42:43], v[56:59]// 000000008CB8: D3E10038 1CE2559A
	buffer_atomic_add_f32 v143, v8, s[32:35], 0 offen offset:384// 000000008CC0: E1341180 80088F08
	v_mfma_f32_16x16x16_bf16 v[56:59], a[156:157], a[44:45], v[56:59]// 000000008CC8: D3E10038 1CE2599C
	ds_read_b128 v[120:123], v12 offset:15744                  // 000000008CD0: D9FE3D80 7800000C
	ds_write_b32 v11, v39 offset:1184                          // 000000008CD8: D81A04A0 0000270B
	v_mfma_f32_16x16x16_bf16 v[56:59], a[158:159], a[46:47], v[56:59]// 000000008CE0: D3E10038 1CE25D9E
	s_add_i32 s82, s59, s99                                    // 000000008CE8: 8152633B
	s_sub_i32 s82, s82, 1                                      // 000000008CEC: 81D28152
	s_add_i32 s81, s59, 16                                     // 000000008CF0: 8151903B
	s_sub_i32 s81, s81, s100                                   // 000000008CF4: 81D16451
	s_add_i32 s81, s81, 1                                      // 000000008CF8: 81518151
	s_branch label_13CC                                        // 000000008CFC: BF820000

0000000000008d00 <label_13CC>:
	s_add_i32 s62, 0, s46                                      // 000000008D00: 813E2E80
	s_mul_i32 s62, s62, 16                                     // 000000008D04: 923E903E
	s_add_i32 s62, s80, s62                                    // 000000008D08: 813E3E50
	s_add_i32 s61, s62, 16                                     // 000000008D0C: 813D903E
	s_add_i32 s61, s61, 16                                     // 000000008D10: 813D903D
	s_cmp_lt_i32 s61, s81                                      // 000000008D14: BF04513D
	s_cselect_b32 s60, 1, 0                                    // 000000008D18: 853C8081
	s_sub_i32 s62, s62, 16                                     // 000000008D1C: 81BE903E
	s_cmp_gt_i32 s62, s82                                      // 000000008D20: BF02523E
	s_cselect_b32 s61, 1, 0                                    // 000000008D24: 853D8081
	s_or_b32 s60, s60, s61                                     // 000000008D28: 873C3D3C
	s_cmp_eq_i32 s60, 1                                        // 000000008D2C: BF00813C
	s_cbranch_scc1 label_145F                                  // 000000008D30: BF850085
	s_add_i32 s61, s62, 32                                     // 000000008D34: 813DA03E
	s_add_i32 s62, s62, 16                                     // 000000008D38: 813E903E
	s_cmp_lt_i32 s62, s81                                      // 000000008D3C: BF04513E
	s_cselect_b32 s60, 1, 0                                    // 000000008D40: 853C8081
	s_cmp_gt_i32 s61, s82                                      // 000000008D44: BF02523D
	s_cselect_b32 s61, 1, 0                                    // 000000008D48: 853D8081
	s_or_b32 s60, s60, s61                                     // 000000008D4C: 873C3D3C
	s_cmp_eq_i32 s60, 1                                        // 000000008D50: BF00813C
	s_cbranch_scc1 label_1412                                  // 000000008D54: BF85002F
	s_branch label_13E3                                        // 000000008D58: BF820000

0000000000008d5c <label_13E3>:
	s_add_i32 s62, 4, s46                                      // 000000008D5C: 813E2E84
	s_mul_i32 s62, s62, 16                                     // 000000008D60: 923E903E
	s_add_i32 s62, s80, s62                                    // 000000008D64: 813E3E50
	s_add_i32 s61, s62, 16                                     // 000000008D68: 813D903E
	s_add_i32 s61, s61, 16                                     // 000000008D6C: 813D903D
	s_cmp_lt_i32 s61, s81                                      // 000000008D70: BF04513D
	s_cselect_b32 s60, 1, 0                                    // 000000008D74: 853C8081
	s_sub_i32 s62, s62, 16                                     // 000000008D78: 81BE903E
	s_cmp_gt_i32 s62, s82                                      // 000000008D7C: BF02523E
	s_cselect_b32 s61, 1, 0                                    // 000000008D80: 853D8081
	s_or_b32 s60, s60, s61                                     // 000000008D84: 873C3D3C
	s_cmp_eq_i32 s60, 1                                        // 000000008D88: BF00813C
	s_cbranch_scc1 label_14B1                                  // 000000008D8C: BF8500C0
	s_add_i32 s61, s62, 32                                     // 000000008D90: 813DA03E
	s_add_i32 s62, s62, 16                                     // 000000008D94: 813E903E
	s_cmp_lt_i32 s62, s81                                      // 000000008D98: BF04513E
	s_cselect_b32 s60, 1, 0                                    // 000000008D9C: 853C8081
	s_cmp_gt_i32 s61, s82                                      // 000000008DA0: BF02523D
	s_cselect_b32 s61, 1, 0                                    // 000000008DA4: 853D8081
	s_or_b32 s60, s60, s61                                     // 000000008DA8: 873C3D3C
	s_cmp_eq_i32 s60, 1                                        // 000000008DAC: BF00813C
	s_cbranch_scc1 label_1464                                  // 000000008DB0: BF85006A
	s_branch label_13FA                                        // 000000008DB4: BF820000

0000000000008db8 <label_13FA>:
	s_add_i32 s62, 8, s46                                      // 000000008DB8: 813E2E88
	s_mul_i32 s62, s62, 16                                     // 000000008DBC: 923E903E
	s_add_i32 s62, s80, s62                                    // 000000008DC0: 813E3E50
	s_add_i32 s61, s62, 16                                     // 000000008DC4: 813D903E
	s_add_i32 s61, s61, 16                                     // 000000008DC8: 813D903D
	s_cmp_lt_i32 s61, s81                                      // 000000008DCC: BF04513D
	s_cselect_b32 s60, 1, 0                                    // 000000008DD0: 853C8081
	s_sub_i32 s62, s62, 16                                     // 000000008DD4: 81BE903E
	s_cmp_gt_i32 s62, s82                                      // 000000008DD8: BF02523E
	s_cselect_b32 s61, 1, 0                                    // 000000008DDC: 853D8081
	s_or_b32 s60, s60, s61                                     // 000000008DE0: 873C3D3C
	s_cmp_eq_i32 s60, 1                                        // 000000008DE4: BF00813C
	s_cbranch_scc1 label_1503                                  // 000000008DE8: BF8500FB
	s_add_i32 s61, s62, 32                                     // 000000008DEC: 813DA03E
	s_add_i32 s62, s62, 16                                     // 000000008DF0: 813E903E
	s_cmp_lt_i32 s62, s81                                      // 000000008DF4: BF04513E
	s_cselect_b32 s60, 1, 0                                    // 000000008DF8: 853C8081
	s_cmp_gt_i32 s61, s82                                      // 000000008DFC: BF02523D
	s_cselect_b32 s61, 1, 0                                    // 000000008E00: 853D8081
	s_or_b32 s60, s60, s61                                     // 000000008E04: 873C3D3C
	s_cmp_eq_i32 s60, 1                                        // 000000008E08: BF00813C
	s_cbranch_scc1 label_14B6                                  // 000000008E0C: BF8500A5
	s_branch label_1508                                        // 000000008E10: BF8200F6

0000000000008e14 <label_1412>:
	v_and_b32_e32 v28, 15, v0                                  // 000000008E14: 2638008F
	v_add_u32_e32 v28, s62, v28                                // 000000008E18: 6838383E
	v_lshrrev_b32_e32 v29, 4, v0                               // 000000008E1C: 203A0084
	v_lshlrev_b32_e32 v29, 2, v29                              // 000000008E20: 243A3A82
	v_add_i32 v29, 0, v29                                      // 000000008E24: D29C001D 00023A80
	v_add_i32 v29, s59, v29                                    // 000000008E2C: D29C001D 00023A3B
	v_sub_i32 v29, v29, v28                                    // 000000008E34: D29D001D 0002391D
	v_cmp_ge_i32_e64 vcc, v29, s100                            // 000000008E3C: D0C6006A 0000C91D
	v_sub_i32 v29, 0, v29                                      // 000000008E44: D29D001D 00023A80
	v_cndmask_b32_e32 v48, v48, v151, vcc                      // 000000008E4C: 00612F30
	v_cmp_ge_i32_e64 vcc, v29, s99                             // 000000008E50: D0C6006A 0000C71D
	s_nop 1                                                    // 000000008E58: BF800001
	v_cndmask_b32_e32 v48, v48, v151, vcc                      // 000000008E5C: 00612F30
	v_and_b32_e32 v28, 15, v0                                  // 000000008E60: 2638008F
	v_add_u32_e32 v28, s62, v28                                // 000000008E64: 6838383E
	v_lshrrev_b32_e32 v29, 4, v0                               // 000000008E68: 203A0084
	v_lshlrev_b32_e32 v29, 2, v29                              // 000000008E6C: 243A3A82
	v_add_i32 v29, 1, v29                                      // 000000008E70: D29C001D 00023A81
	v_add_i32 v29, s59, v29                                    // 000000008E78: D29C001D 00023A3B
	v_sub_i32 v29, v29, v28                                    // 000000008E80: D29D001D 0002391D
	v_cmp_ge_i32_e64 vcc, v29, s100                            // 000000008E88: D0C6006A 0000C91D
	v_sub_i32 v29, 0, v29                                      // 000000008E90: D29D001D 00023A80
	v_cndmask_b32_e32 v49, v49, v151, vcc                      // 000000008E98: 00632F31
	v_cmp_ge_i32_e64 vcc, v29, s99                             // 000000008E9C: D0C6006A 0000C71D
	s_nop 1                                                    // 000000008EA4: BF800001
	v_cndmask_b32_e32 v49, v49, v151, vcc                      // 000000008EA8: 00632F31
	v_and_b32_e32 v28, 15, v0                                  // 000000008EAC: 2638008F
	v_add_u32_e32 v28, s62, v28                                // 000000008EB0: 6838383E
	v_lshrrev_b32_e32 v29, 4, v0                               // 000000008EB4: 203A0084
	v_lshlrev_b32_e32 v29, 2, v29                              // 000000008EB8: 243A3A82
	v_add_i32 v29, 2, v29                                      // 000000008EBC: D29C001D 00023A82
	v_add_i32 v29, s59, v29                                    // 000000008EC4: D29C001D 00023A3B
	v_sub_i32 v29, v29, v28                                    // 000000008ECC: D29D001D 0002391D
	v_cmp_ge_i32_e64 vcc, v29, s100                            // 000000008ED4: D0C6006A 0000C91D
	v_sub_i32 v29, 0, v29                                      // 000000008EDC: D29D001D 00023A80
	v_cndmask_b32_e32 v50, v50, v151, vcc                      // 000000008EE4: 00652F32
	v_cmp_ge_i32_e64 vcc, v29, s99                             // 000000008EE8: D0C6006A 0000C71D
	s_nop 1                                                    // 000000008EF0: BF800001
	v_cndmask_b32_e32 v50, v50, v151, vcc                      // 000000008EF4: 00652F32
	v_and_b32_e32 v28, 15, v0                                  // 000000008EF8: 2638008F
	v_add_u32_e32 v28, s62, v28                                // 000000008EFC: 6838383E
	v_lshrrev_b32_e32 v29, 4, v0                               // 000000008F00: 203A0084
	v_lshlrev_b32_e32 v29, 2, v29                              // 000000008F04: 243A3A82
	v_add_i32 v29, 3, v29                                      // 000000008F08: D29C001D 00023A83
	v_add_i32 v29, s59, v29                                    // 000000008F10: D29C001D 00023A3B
	v_sub_i32 v29, v29, v28                                    // 000000008F18: D29D001D 0002391D
	v_cmp_ge_i32_e64 vcc, v29, s100                            // 000000008F20: D0C6006A 0000C91D
	v_sub_i32 v29, 0, v29                                      // 000000008F28: D29D001D 00023A80
	v_cndmask_b32_e32 v51, v51, v151, vcc                      // 000000008F30: 00672F33
	v_cmp_ge_i32_e64 vcc, v29, s99                             // 000000008F34: D0C6006A 0000C71D
	s_nop 1                                                    // 000000008F3C: BF800001
	v_cndmask_b32_e32 v51, v51, v151, vcc                      // 000000008F40: 00672F33
	s_branch label_13E3                                        // 000000008F44: BF82FF85

0000000000008f48 <label_145F>:
	v_mov_b32_e32 v48, v151                                    // 000000008F48: 7E600397
	v_mov_b32_e32 v49, v151                                    // 000000008F4C: 7E620397
	v_mov_b32_e32 v50, v151                                    // 000000008F50: 7E640397
	v_mov_b32_e32 v51, v151                                    // 000000008F54: 7E660397
	s_branch label_13E3                                        // 000000008F58: BF82FF80

0000000000008f5c <label_1464>:
	v_and_b32_e32 v28, 15, v0                                  // 000000008F5C: 2638008F
	v_add_u32_e32 v28, s62, v28                                // 000000008F60: 6838383E
	v_lshrrev_b32_e32 v29, 4, v0                               // 000000008F64: 203A0084
	v_lshlrev_b32_e32 v29, 2, v29                              // 000000008F68: 243A3A82
	v_add_i32 v29, 0, v29                                      // 000000008F6C: D29C001D 00023A80
	v_add_i32 v29, s59, v29                                    // 000000008F74: D29C001D 00023A3B
	v_sub_i32 v29, v29, v28                                    // 000000008F7C: D29D001D 0002391D
	v_cmp_ge_i32_e64 vcc, v29, s100                            // 000000008F84: D0C6006A 0000C91D
	v_sub_i32 v29, 0, v29                                      // 000000008F8C: D29D001D 00023A80
	v_cndmask_b32_e32 v52, v52, v151, vcc                      // 000000008F94: 00692F34
	v_cmp_ge_i32_e64 vcc, v29, s99                             // 000000008F98: D0C6006A 0000C71D
	s_nop 1                                                    // 000000008FA0: BF800001
	v_cndmask_b32_e32 v52, v52, v151, vcc                      // 000000008FA4: 00692F34
	v_and_b32_e32 v28, 15, v0                                  // 000000008FA8: 2638008F
	v_add_u32_e32 v28, s62, v28                                // 000000008FAC: 6838383E
	v_lshrrev_b32_e32 v29, 4, v0                               // 000000008FB0: 203A0084
	v_lshlrev_b32_e32 v29, 2, v29                              // 000000008FB4: 243A3A82
	v_add_i32 v29, 1, v29                                      // 000000008FB8: D29C001D 00023A81
	v_add_i32 v29, s59, v29                                    // 000000008FC0: D29C001D 00023A3B
	v_sub_i32 v29, v29, v28                                    // 000000008FC8: D29D001D 0002391D
	v_cmp_ge_i32_e64 vcc, v29, s100                            // 000000008FD0: D0C6006A 0000C91D
	v_sub_i32 v29, 0, v29                                      // 000000008FD8: D29D001D 00023A80
	v_cndmask_b32_e32 v53, v53, v151, vcc                      // 000000008FE0: 006B2F35
	v_cmp_ge_i32_e64 vcc, v29, s99                             // 000000008FE4: D0C6006A 0000C71D
	s_nop 1                                                    // 000000008FEC: BF800001
	v_cndmask_b32_e32 v53, v53, v151, vcc                      // 000000008FF0: 006B2F35
	v_and_b32_e32 v28, 15, v0                                  // 000000008FF4: 2638008F
	v_add_u32_e32 v28, s62, v28                                // 000000008FF8: 6838383E
	v_lshrrev_b32_e32 v29, 4, v0                               // 000000008FFC: 203A0084
	v_lshlrev_b32_e32 v29, 2, v29                              // 000000009000: 243A3A82
	v_add_i32 v29, 2, v29                                      // 000000009004: D29C001D 00023A82
	v_add_i32 v29, s59, v29                                    // 00000000900C: D29C001D 00023A3B
	v_sub_i32 v29, v29, v28                                    // 000000009014: D29D001D 0002391D
	v_cmp_ge_i32_e64 vcc, v29, s100                            // 00000000901C: D0C6006A 0000C91D
	v_sub_i32 v29, 0, v29                                      // 000000009024: D29D001D 00023A80
	v_cndmask_b32_e32 v54, v54, v151, vcc                      // 00000000902C: 006D2F36
	v_cmp_ge_i32_e64 vcc, v29, s99                             // 000000009030: D0C6006A 0000C71D
	s_nop 1                                                    // 000000009038: BF800001
	v_cndmask_b32_e32 v54, v54, v151, vcc                      // 00000000903C: 006D2F36
	v_and_b32_e32 v28, 15, v0                                  // 000000009040: 2638008F
	v_add_u32_e32 v28, s62, v28                                // 000000009044: 6838383E
	v_lshrrev_b32_e32 v29, 4, v0                               // 000000009048: 203A0084
	v_lshlrev_b32_e32 v29, 2, v29                              // 00000000904C: 243A3A82
	v_add_i32 v29, 3, v29                                      // 000000009050: D29C001D 00023A83
	v_add_i32 v29, s59, v29                                    // 000000009058: D29C001D 00023A3B
	v_sub_i32 v29, v29, v28                                    // 000000009060: D29D001D 0002391D
	v_cmp_ge_i32_e64 vcc, v29, s100                            // 000000009068: D0C6006A 0000C91D
	v_sub_i32 v29, 0, v29                                      // 000000009070: D29D001D 00023A80
	v_cndmask_b32_e32 v55, v55, v151, vcc                      // 000000009078: 006F2F37
	v_cmp_ge_i32_e64 vcc, v29, s99                             // 00000000907C: D0C6006A 0000C71D
	s_nop 1                                                    // 000000009084: BF800001
	v_cndmask_b32_e32 v55, v55, v151, vcc                      // 000000009088: 006F2F37
	s_branch label_13FA                                        // 00000000908C: BF82FF4A

0000000000009090 <label_14B1>:
	v_mov_b32_e32 v52, v151                                    // 000000009090: 7E680397
	v_mov_b32_e32 v53, v151                                    // 000000009094: 7E6A0397
	v_mov_b32_e32 v54, v151                                    // 000000009098: 7E6C0397
	v_mov_b32_e32 v55, v151                                    // 00000000909C: 7E6E0397
	s_branch label_13FA                                        // 0000000090A0: BF82FF45

00000000000090a4 <label_14B6>:
	v_and_b32_e32 v28, 15, v0                                  // 0000000090A4: 2638008F
	v_add_u32_e32 v28, s62, v28                                // 0000000090A8: 6838383E
	v_lshrrev_b32_e32 v29, 4, v0                               // 0000000090AC: 203A0084
	v_lshlrev_b32_e32 v29, 2, v29                              // 0000000090B0: 243A3A82
	v_add_i32 v29, 0, v29                                      // 0000000090B4: D29C001D 00023A80
	v_add_i32 v29, s59, v29                                    // 0000000090BC: D29C001D 00023A3B
	v_sub_i32 v29, v29, v28                                    // 0000000090C4: D29D001D 0002391D
	v_cmp_ge_i32_e64 vcc, v29, s100                            // 0000000090CC: D0C6006A 0000C91D
	v_sub_i32 v29, 0, v29                                      // 0000000090D4: D29D001D 00023A80
	v_cndmask_b32_e32 v56, v56, v151, vcc                      // 0000000090DC: 00712F38
	v_cmp_ge_i32_e64 vcc, v29, s99                             // 0000000090E0: D0C6006A 0000C71D
	s_nop 1                                                    // 0000000090E8: BF800001
	v_cndmask_b32_e32 v56, v56, v151, vcc                      // 0000000090EC: 00712F38
	v_and_b32_e32 v28, 15, v0                                  // 0000000090F0: 2638008F
	v_add_u32_e32 v28, s62, v28                                // 0000000090F4: 6838383E
	v_lshrrev_b32_e32 v29, 4, v0                               // 0000000090F8: 203A0084
	v_lshlrev_b32_e32 v29, 2, v29                              // 0000000090FC: 243A3A82
	v_add_i32 v29, 1, v29                                      // 000000009100: D29C001D 00023A81
	v_add_i32 v29, s59, v29                                    // 000000009108: D29C001D 00023A3B
	v_sub_i32 v29, v29, v28                                    // 000000009110: D29D001D 0002391D
	v_cmp_ge_i32_e64 vcc, v29, s100                            // 000000009118: D0C6006A 0000C91D
	v_sub_i32 v29, 0, v29                                      // 000000009120: D29D001D 00023A80
	v_cndmask_b32_e32 v57, v57, v151, vcc                      // 000000009128: 00732F39
	v_cmp_ge_i32_e64 vcc, v29, s99                             // 00000000912C: D0C6006A 0000C71D
	s_nop 1                                                    // 000000009134: BF800001
	v_cndmask_b32_e32 v57, v57, v151, vcc                      // 000000009138: 00732F39
	v_and_b32_e32 v28, 15, v0                                  // 00000000913C: 2638008F
	v_add_u32_e32 v28, s62, v28                                // 000000009140: 6838383E
	v_lshrrev_b32_e32 v29, 4, v0                               // 000000009144: 203A0084
	v_lshlrev_b32_e32 v29, 2, v29                              // 000000009148: 243A3A82
	v_add_i32 v29, 2, v29                                      // 00000000914C: D29C001D 00023A82
	v_add_i32 v29, s59, v29                                    // 000000009154: D29C001D 00023A3B
	v_sub_i32 v29, v29, v28                                    // 00000000915C: D29D001D 0002391D
	v_cmp_ge_i32_e64 vcc, v29, s100                            // 000000009164: D0C6006A 0000C91D
	v_sub_i32 v29, 0, v29                                      // 00000000916C: D29D001D 00023A80
	v_cndmask_b32_e32 v58, v58, v151, vcc                      // 000000009174: 00752F3A
	v_cmp_ge_i32_e64 vcc, v29, s99                             // 000000009178: D0C6006A 0000C71D
	s_nop 1                                                    // 000000009180: BF800001
	v_cndmask_b32_e32 v58, v58, v151, vcc                      // 000000009184: 00752F3A
	v_and_b32_e32 v28, 15, v0                                  // 000000009188: 2638008F
	v_add_u32_e32 v28, s62, v28                                // 00000000918C: 6838383E
	v_lshrrev_b32_e32 v29, 4, v0                               // 000000009190: 203A0084
	v_lshlrev_b32_e32 v29, 2, v29                              // 000000009194: 243A3A82
	v_add_i32 v29, 3, v29                                      // 000000009198: D29C001D 00023A83
	v_add_i32 v29, s59, v29                                    // 0000000091A0: D29C001D 00023A3B
	v_sub_i32 v29, v29, v28                                    // 0000000091A8: D29D001D 0002391D
	v_cmp_ge_i32_e64 vcc, v29, s100                            // 0000000091B0: D0C6006A 0000C91D
	v_sub_i32 v29, 0, v29                                      // 0000000091B8: D29D001D 00023A80
	v_cndmask_b32_e32 v59, v59, v151, vcc                      // 0000000091C0: 00772F3B
	v_cmp_ge_i32_e64 vcc, v29, s99                             // 0000000091C4: D0C6006A 0000C71D
	s_nop 1                                                    // 0000000091CC: BF800001
	v_cndmask_b32_e32 v59, v59, v151, vcc                      // 0000000091D0: 00772F3B
	s_branch label_1508                                        // 0000000091D4: BF820005

00000000000091d8 <label_1503>:
	v_mov_b32_e32 v56, v151                                    // 0000000091D8: 7E700397
	v_mov_b32_e32 v57, v151                                    // 0000000091DC: 7E720397
	v_mov_b32_e32 v58, v151                                    // 0000000091E0: 7E740397
	v_mov_b32_e32 v59, v151                                    // 0000000091E4: 7E760397
	s_branch label_1508                                        // 0000000091E8: BF820000

00000000000091ec <label_1508>:
	s_cmp_lt_i32 s94, 0xc0                                     // 0000000091EC: BF04FF5E 000000C0
	s_cbranch_scc0 label_155D                                  // 0000000091F4: BF84004D
	s_cmp_le_i32 s94, 64                                       // 0000000091F8: BF05C05E
	s_cbranch_scc1 label_1514                                  // 0000000091FC: BF850007
	s_cmp_le_i32 s94, 0x80                                     // 000000009200: BF05FF5E 00000080
	s_cbranch_scc1 label_152C                                  // 000000009208: BF850017
	s_cmp_lt_i32 s94, 0xc0                                     // 00000000920C: BF04FF5E 000000C0
	s_cbranch_scc1 label_1544                                  // 000000009214: BF85002C
	s_branch label_155D                                        // 000000009218: BF820044

000000000000921c <label_1514>:
	s_mov_b32 s60, 0                                           // 00000000921C: BEBC0080
	v_and_b32_e32 v28, 15, v0                                  // 000000009220: 2638008F
	v_add_u32_e64 v28, v28, s60                                // 000000009224: D134001C 0000791C
	v_mul_i32_i24_e64 v29, s46, 16                             // 00000000922C: D106001D 0001202E
	v_add_u32_e32 v28, v28, v29                                // 000000009234: 68383B1C
	v_cmp_lt_u32_e64 s[60:61], v28, s94                        // 000000009238: D0C9003C 0000BD1C
	s_nop 1                                                    // 000000009240: BF800001
	v_cndmask_b32_e64 v48, v151, v48, s[60:61]                 // 000000009244: D1000030 00F26197
	v_cndmask_b32_e64 v49, v151, v49, s[60:61]                 // 00000000924C: D1000031 00F26397
	v_cndmask_b32_e64 v50, v151, v50, s[60:61]                 // 000000009254: D1000032 00F26597
	v_cndmask_b32_e64 v51, v151, v51, s[60:61]                 // 00000000925C: D1000033 00F26797
	s_branch label_153F                                        // 000000009264: BF820013

0000000000009268 <label_152C>:
	s_mov_b32 s60, 64                                          // 000000009268: BEBC00C0
	v_and_b32_e32 v28, 15, v0                                  // 00000000926C: 2638008F
	v_add_u32_e64 v28, v28, s60                                // 000000009270: D134001C 0000791C
	v_mul_i32_i24_e64 v29, s46, 16                             // 000000009278: D106001D 0001202E
	v_add_u32_e32 v28, v28, v29                                // 000000009280: 68383B1C
	v_cmp_lt_u32_e64 s[60:61], v28, s94                        // 000000009284: D0C9003C 0000BD1C
	s_nop 1                                                    // 00000000928C: BF800001
	v_cndmask_b32_e64 v52, v151, v52, s[60:61]                 // 000000009290: D1000034 00F26997
	v_cndmask_b32_e64 v53, v151, v53, s[60:61]                 // 000000009298: D1000035 00F26B97
	v_cndmask_b32_e64 v54, v151, v54, s[60:61]                 // 0000000092A0: D1000036 00F26D97
	v_cndmask_b32_e64 v55, v151, v55, s[60:61]                 // 0000000092A8: D1000037 00F26F97
	s_branch label_1558                                        // 0000000092B0: BF820019

00000000000092b4 <label_153F>:
	v_mov_b32_e32 v52, v151                                    // 0000000092B4: 7E680397
	v_mov_b32_e32 v53, v151                                    // 0000000092B8: 7E6A0397
	v_mov_b32_e32 v54, v151                                    // 0000000092BC: 7E6C0397
	v_mov_b32_e32 v55, v151                                    // 0000000092C0: 7E6E0397
	s_branch label_1558                                        // 0000000092C4: BF820014

00000000000092c8 <label_1544>:
	s_mov_b32 s60, 0x80                                        // 0000000092C8: BEBC00FF 00000080
	v_and_b32_e32 v28, 15, v0                                  // 0000000092D0: 2638008F
	v_add_u32_e64 v28, v28, s60                                // 0000000092D4: D134001C 0000791C
	v_mul_i32_i24_e64 v29, s46, 16                             // 0000000092DC: D106001D 0001202E
	v_add_u32_e32 v28, v28, v29                                // 0000000092E4: 68383B1C
	v_cmp_lt_u32_e64 s[60:61], v28, s94                        // 0000000092E8: D0C9003C 0000BD1C
	s_nop 1                                                    // 0000000092F0: BF800001
	v_cndmask_b32_e64 v56, v151, v56, s[60:61]                 // 0000000092F4: D1000038 00F27197
	v_cndmask_b32_e64 v57, v151, v57, s[60:61]                 // 0000000092FC: D1000039 00F27397
	v_cndmask_b32_e64 v58, v151, v58, s[60:61]                 // 000000009304: D100003A 00F27597
	v_cndmask_b32_e64 v59, v151, v59, s[60:61]                 // 00000000930C: D100003B 00F27797
	s_branch label_155D                                        // 000000009314: BF820005

0000000000009318 <label_1558>:
	v_mov_b32_e32 v56, v151                                    // 000000009318: 7E700397
	v_mov_b32_e32 v57, v151                                    // 00000000931C: 7E720397
	v_mov_b32_e32 v58, v151                                    // 000000009320: 7E740397
	v_mov_b32_e32 v59, v151                                    // 000000009324: 7E760397
	s_branch label_155D                                        // 000000009328: BF820000

000000000000932c <label_155D>:
	s_waitcnt lgkmcnt(8)                                       // 00000000932C: BF8CC87F
	s_barrier                                                  // 000000009330: BF8A0000
	v_mfma_f32_16x16x16_bf16 v[72:75], v[92:93], a[96:97], 0   // 000000009334: D3E10048 1202C15C
	v_fma_f32 v48, v48, s57, -v124                             // 00000000933C: D1CB0030 85F07330
	v_fma_f32 v49, v49, s57, -v125                             // 000000009344: D1CB0031 85F47331
	v_fma_f32 v50, v50, s57, -v126                             // 00000000934C: D1CB0032 85F87332
	v_mfma_f32_16x16x16_bf16 v[72:75], v[94:95], a[98:99], v[72:75]// 000000009354: D3E10048 1522C55E
	ds_read_b128 a[144:147], v12 offset:4352                   // 00000000935C: DBFE1100 9000000C
	ds_read_b128 a[148:151], v12 offset:4864                   // 000000009364: DBFE1300 9400000C
	v_mfma_f32_16x16x16_bf16 v[72:75], v[96:97], a[100:101], v[72:75]// 00000000936C: D3E10048 1522C960
	v_fma_f32 v51, v51, s57, -v127                             // 000000009374: D1CB0033 85FC7333
	v_fma_f32 v52, v52, s57, -v124                             // 00000000937C: D1CB0034 85F07334
	v_fma_f32 v53, v53, s57, -v125                             // 000000009384: D1CB0035 85F47335
	v_mfma_f32_16x16x16_bf16 v[72:75], v[98:99], a[102:103], v[72:75]// 00000000938C: D3E10048 1522CD62
	v_fma_f32 v54, v54, s57, -v126                             // 000000009394: D1CB0036 85F87336
	v_fma_f32 v55, v55, s57, -v127                             // 00000000939C: D1CB0037 85FC7337
	v_fma_f32 v56, v56, s57, -v124                             // 0000000093A4: D1CB0038 85F07338
	v_mfma_f32_16x16x16_bf16 v[72:75], v[100:101], a[104:105], v[72:75]// 0000000093AC: D3E10048 1522D164
	v_fma_f32 v57, v57, s57, -v125                             // 0000000093B4: D1CB0039 85F47339
	v_fma_f32 v58, v58, s57, -v126                             // 0000000093BC: D1CB003A 85F8733A
	v_fma_f32 v59, v59, s57, -v127                             // 0000000093C4: D1CB003B 85FC733B
	v_mfma_f32_16x16x16_bf16 v[72:75], v[102:103], a[106:107], v[72:75]// 0000000093CC: D3E10048 1522D566
	ds_read_b128 a[152:155], v12 offset:6528                   // 0000000093D4: DBFE1980 9800000C
	ds_read_b128 a[156:159], v12 offset:7040                   // 0000000093DC: DBFE1B80 9C00000C
	v_mfma_f32_16x16x16_bf16 v[72:75], v[104:105], a[108:109], v[72:75]// 0000000093E4: D3E10048 1522D968
	v_exp_f32_e32 v48, v48                                     // 0000000093EC: 7E604130
	v_mfma_f32_16x16x16_bf16 v[72:75], v[106:107], a[110:111], v[72:75]// 0000000093F0: D3E10048 1522DD6A
	v_exp_f32_e32 v49, v49                                     // 0000000093F8: 7E624131
	v_mfma_f32_16x16x16_bf16 v[76:79], v[92:93], a[112:113], 0 // 0000000093FC: D3E1004C 1202E15C
	v_exp_f32_e32 v50, v50                                     // 000000009404: 7E644132
	v_mfma_f32_16x16x16_bf16 v[76:79], v[94:95], a[114:115], v[76:79]// 000000009408: D3E1004C 1532E55E
	ds_read_b64 v[136:137], v19 offset:24320                   // 000000009410: D8EC5F00 88000013
	ds_read_b64 v[138:139], v19 offset:26368                   // 000000009418: D8EC6700 8A000013
	v_mfma_f32_16x16x16_bf16 v[76:79], v[96:97], a[116:117], v[76:79]// 000000009420: D3E1004C 1532E960
	v_exp_f32_e32 v51, v51                                     // 000000009428: 7E664133
	v_mfma_f32_16x16x16_bf16 v[76:79], v[98:99], a[118:119], v[76:79]// 00000000942C: D3E1004C 1532ED62
	ds_read_b64 v[140:141], v19 offset:28416                   // 000000009434: D8EC6F00 8C000013
	ds_read_b64 v[142:143], v19 offset:30464                   // 00000000943C: D8EC7700 8E000013
	v_mfma_f32_16x16x16_bf16 v[76:79], v[100:101], a[120:121], v[76:79]// 000000009444: D3E1004C 1532F164
	v_exp_f32_e32 v52, v52                                     // 00000000944C: 7E684134
	v_mfma_f32_16x16x16_bf16 v[76:79], v[102:103], a[122:123], v[76:79]// 000000009450: D3E1004C 1532F566
	v_exp_f32_e32 v53, v53                                     // 000000009458: 7E6A4135
	v_mfma_f32_16x16x16_bf16 v[76:79], v[104:105], a[124:125], v[76:79]// 00000000945C: D3E1004C 1532F968
	v_exp_f32_e32 v54, v54                                     // 000000009464: 7E6C4136
	v_mfma_f32_16x16x16_bf16 v[76:79], v[106:107], a[126:127], v[76:79]// 000000009468: D3E1004C 1532FD6A
	v_exp_f32_e32 v55, v55                                     // 000000009470: 7E6E4137
	v_mfma_f32_16x16x16_bf16 v[80:83], v[92:93], a[128:129], 0 // 000000009474: D3E10050 1203015C
	v_exp_f32_e32 v56, v56                                     // 00000000947C: 7E704138
	v_mfma_f32_16x16x16_bf16 v[80:83], v[94:95], a[130:131], v[80:83]// 000000009480: D3E10050 1543055E
	v_exp_f32_e32 v57, v57                                     // 000000009488: 7E724139
	v_mfma_f32_16x16x16_bf16 v[80:83], v[96:97], a[132:133], v[80:83]// 00000000948C: D3E10050 15430960
	v_exp_f32_e32 v58, v58                                     // 000000009494: 7E74413A
	v_mfma_f32_16x16x16_bf16 v[80:83], v[98:99], a[134:135], v[80:83]// 000000009498: D3E10050 15430D62
	v_exp_f32_e32 v59, v59                                     // 0000000094A0: 7E76413B
	v_mfma_f32_16x16x16_bf16 v[80:83], v[100:101], a[136:137], v[80:83]// 0000000094A4: D3E10050 15431164
	v_cmp_u_f32_e64 s[74:75], v48, v48                         // 0000000094AC: D048004A 00026130
	v_bfe_u32 v248, v48, 16, 1                                 // 0000000094B4: D1C800F8 02052130
	v_add3_u32 v248, v48, v248, v251                           // 0000000094BC: D1FF00F8 07EFF130
	v_cndmask_b32_e64 v28, v248, v250, s[74:75]                // 0000000094C4: D100001C 012BF5F8
	v_lshrrev_b32_e32 v28, 16, v28                             // 0000000094CC: 20383890
	v_cmp_u_f32_e64 s[74:75], v49, v49                         // 0000000094D0: D048004A 00026331
	v_bfe_u32 v248, v49, 16, 1                                 // 0000000094D8: D1C800F8 02052131
	v_add3_u32 v248, v49, v248, v251                           // 0000000094E0: D1FF00F8 07EFF131
	v_cndmask_b32_e64 v29, v248, v250, s[74:75]                // 0000000094E8: D100001D 012BF5F8
	v_and_or_b32 v144, v29, v249, v28                          // 0000000094F0: D2010090 0473F31D
	v_cmp_u_f32_e64 s[74:75], v50, v50                         // 0000000094F8: D048004A 00026532
	v_bfe_u32 v248, v50, 16, 1                                 // 000000009500: D1C800F8 02052132
	v_add3_u32 v248, v50, v248, v251                           // 000000009508: D1FF00F8 07EFF132
	v_cndmask_b32_e64 v28, v248, v250, s[74:75]                // 000000009510: D100001C 012BF5F8
	v_lshrrev_b32_e32 v28, 16, v28                             // 000000009518: 20383890
	v_cmp_u_f32_e64 s[74:75], v51, v51                         // 00000000951C: D048004A 00026733
	v_bfe_u32 v248, v51, 16, 1                                 // 000000009524: D1C800F8 02052133
	v_add3_u32 v248, v51, v248, v251                           // 00000000952C: D1FF00F8 07EFF133
	v_cndmask_b32_e64 v29, v248, v250, s[74:75]                // 000000009534: D100001D 012BF5F8
	v_and_or_b32 v145, v29, v249, v28                          // 00000000953C: D2010091 0473F31D
	v_cmp_u_f32_e64 s[74:75], v52, v52                         // 000000009544: D048004A 00026934
	v_bfe_u32 v248, v52, 16, 1                                 // 00000000954C: D1C800F8 02052134
	v_add3_u32 v248, v52, v248, v251                           // 000000009554: D1FF00F8 07EFF134
	v_cndmask_b32_e64 v28, v248, v250, s[74:75]                // 00000000955C: D100001C 012BF5F8
	v_lshrrev_b32_e32 v28, 16, v28                             // 000000009564: 20383890
	v_cmp_u_f32_e64 s[74:75], v53, v53                         // 000000009568: D048004A 00026B35
	v_bfe_u32 v248, v53, 16, 1                                 // 000000009570: D1C800F8 02052135
	v_add3_u32 v248, v53, v248, v251                           // 000000009578: D1FF00F8 07EFF135
	v_cndmask_b32_e64 v29, v248, v250, s[74:75]                // 000000009580: D100001D 012BF5F8
	v_and_or_b32 v146, v29, v249, v28                          // 000000009588: D2010092 0473F31D
	v_mfma_f32_16x16x16_bf16 v[80:83], v[102:103], a[138:139], v[80:83]// 000000009590: D3E10050 15431566
	v_cmp_u_f32_e64 s[74:75], v54, v54                         // 000000009598: D048004A 00026D36
	v_bfe_u32 v248, v54, 16, 1                                 // 0000000095A0: D1C800F8 02052136
	v_add3_u32 v248, v54, v248, v251                           // 0000000095A8: D1FF00F8 07EFF136
	v_cndmask_b32_e64 v28, v248, v250, s[74:75]                // 0000000095B0: D100001C 012BF5F8
	v_lshrrev_b32_e32 v28, 16, v28                             // 0000000095B8: 20383890
	v_cmp_u_f32_e64 s[74:75], v55, v55                         // 0000000095BC: D048004A 00026F37
	v_bfe_u32 v248, v55, 16, 1                                 // 0000000095C4: D1C800F8 02052137
	v_add3_u32 v248, v55, v248, v251                           // 0000000095CC: D1FF00F8 07EFF137
	v_cndmask_b32_e64 v29, v248, v250, s[74:75]                // 0000000095D4: D100001D 012BF5F8
	v_and_or_b32 v147, v29, v249, v28                          // 0000000095DC: D2010093 0473F31D
	v_cmp_u_f32_e64 s[74:75], v56, v56                         // 0000000095E4: D048004A 00027138
	v_bfe_u32 v248, v56, 16, 1                                 // 0000000095EC: D1C800F8 02052138
	v_add3_u32 v248, v56, v248, v251                           // 0000000095F4: D1FF00F8 07EFF138
	v_cndmask_b32_e64 v28, v248, v250, s[74:75]                // 0000000095FC: D100001C 012BF5F8
	v_lshrrev_b32_e32 v28, 16, v28                             // 000000009604: 20383890
	v_cmp_u_f32_e64 s[74:75], v57, v57                         // 000000009608: D048004A 00027339
	v_bfe_u32 v248, v57, 16, 1                                 // 000000009610: D1C800F8 02052139
	v_add3_u32 v248, v57, v248, v251                           // 000000009618: D1FF00F8 07EFF139
	v_cndmask_b32_e64 v29, v248, v250, s[74:75]                // 000000009620: D100001D 012BF5F8
	v_and_or_b32 v148, v29, v249, v28                          // 000000009628: D2010094 0473F31D
	v_cmp_u_f32_e64 s[74:75], v58, v58                         // 000000009630: D048004A 0002753A
	v_bfe_u32 v248, v58, 16, 1                                 // 000000009638: D1C800F8 0205213A
	v_add3_u32 v248, v58, v248, v251                           // 000000009640: D1FF00F8 07EFF13A
	v_cndmask_b32_e64 v28, v248, v250, s[74:75]                // 000000009648: D100001C 012BF5F8
	v_lshrrev_b32_e32 v28, 16, v28                             // 000000009650: 20383890
	v_cmp_u_f32_e64 s[74:75], v59, v59                         // 000000009654: D048004A 0002773B
	v_bfe_u32 v248, v59, 16, 1                                 // 00000000965C: D1C800F8 0205213B
	v_add3_u32 v248, v59, v248, v251                           // 000000009664: D1FF00F8 07EFF13B
	v_cndmask_b32_e64 v29, v248, v250, s[74:75]                // 00000000966C: D100001D 012BF5F8
	v_and_or_b32 v149, v29, v249, v28                          // 000000009674: D2010095 0473F31D
	v_mfma_f32_16x16x16_bf16 v[80:83], v[104:105], a[140:141], v[80:83]// 00000000967C: D3E10050 15431968
	v_add_u32_e32 v7, s66, v7                                  // 000000009684: 680E0E42
	v_add_u32_e32 v8, s66, v8                                  // 000000009688: 68101042
	v_mfma_f32_16x16x16_bf16 v[80:83], v[106:107], a[142:143], v[80:83]// 00000000968C: D3E10050 15431D6A
	s_waitcnt lgkmcnt(0)                                       // 000000009694: BF8CC07F
	s_barrier                                                  // 000000009698: BF8A0000
	v_mfma_f32_16x16x16_bf16 v[152:155], v[108:109], v[144:145], v[152:155]// 00000000969C: D3E10098 0663216C
	v_subrev_f32_dpp v72, v150, v72 quad_perm:[0,0,0,0] row_mask:0xf bank_mask:0xf// 0000000096A4: 069090FA FF000096
	v_subrev_f32_dpp v73, v150, v73 quad_perm:[1,1,1,1] row_mask:0xf bank_mask:0xf// 0000000096AC: 069292FA FF005596
	v_subrev_f32_dpp v74, v150, v74 quad_perm:[2,2,2,2] row_mask:0xf bank_mask:0xf// 0000000096B4: 069494FA FF00AA96
	v_mfma_f32_16x16x16_bf16 v[156:159], v[110:111], v[144:145], v[156:159]// 0000000096BC: D3E1009C 0673216E
	v_subrev_f32_dpp v75, v150, v75 quad_perm:[3,3,3,3] row_mask:0xf bank_mask:0xf// 0000000096C4: 069696FA FF00FF96
	v_subrev_f32_dpp v76, v150, v76 quad_perm:[0,0,0,0] row_mask:0xf bank_mask:0xf// 0000000096CC: 069898FA FF000096
	v_subrev_f32_dpp v77, v150, v77 quad_perm:[1,1,1,1] row_mask:0xf bank_mask:0xf// 0000000096D4: 069A9AFA FF005596
	v_mfma_f32_16x16x16_bf16 v[160:163], v[112:113], v[144:145], v[160:163]// 0000000096DC: D3E100A0 06832170
	v_mul_f32_e32 v72, v48, v72                                // 0000000096E4: 0A909130
	v_mul_f32_e32 v73, v49, v73                                // 0000000096E8: 0A929331
	v_mul_f32_e32 v74, v50, v74                                // 0000000096EC: 0A949532
	v_mfma_f32_16x16x16_bf16 v[164:167], v[114:115], v[144:145], v[164:167]// 0000000096F0: D3E100A4 06932172
	v_mul_f32_e32 v75, v51, v75                                // 0000000096F8: 0A969733
	v_mul_f32_e32 v76, v52, v76                                // 0000000096FC: 0A989934
	v_mul_f32_e32 v77, v53, v77                                // 000000009700: 0A9A9B35
	v_mfma_f32_16x16x16_bf16 v[168:171], v[116:117], v[144:145], v[168:171]// 000000009704: D3E100A8 06A32174
	v_cmp_u_f32_e64 s[74:75], v72, v72                         // 00000000970C: D048004A 00029148
	v_bfe_u32 v248, v72, 16, 1                                 // 000000009714: D1C800F8 02052148
	v_add3_u32 v248, v72, v248, v251                           // 00000000971C: D1FF00F8 07EFF148
	v_cndmask_b32_e64 v28, v248, v250, s[74:75]                // 000000009724: D100001C 012BF5F8
	v_lshrrev_b32_e32 v28, 16, v28                             // 00000000972C: 20383890
	v_cmp_u_f32_e64 s[74:75], v73, v73                         // 000000009730: D048004A 00029349
	v_bfe_u32 v248, v73, 16, 1                                 // 000000009738: D1C800F8 02052149
	v_add3_u32 v248, v73, v248, v251                           // 000000009740: D1FF00F8 07EFF149
	v_cndmask_b32_e64 v29, v248, v250, s[74:75]                // 000000009748: D100001D 012BF5F8
	v_and_or_b32 v72, v29, v249, v28                           // 000000009750: D2010048 0473F31D
	v_cmp_u_f32_e64 s[74:75], v74, v74                         // 000000009758: D048004A 0002954A
	v_bfe_u32 v248, v74, 16, 1                                 // 000000009760: D1C800F8 0205214A
	v_add3_u32 v248, v74, v248, v251                           // 000000009768: D1FF00F8 07EFF14A
	v_cndmask_b32_e64 v28, v248, v250, s[74:75]                // 000000009770: D100001C 012BF5F8
	v_lshrrev_b32_e32 v28, 16, v28                             // 000000009778: 20383890
	v_cmp_u_f32_e64 s[74:75], v75, v75                         // 00000000977C: D048004A 0002974B
	v_bfe_u32 v248, v75, 16, 1                                 // 000000009784: D1C800F8 0205214B
	v_add3_u32 v248, v75, v248, v251                           // 00000000978C: D1FF00F8 07EFF14B
	v_cndmask_b32_e64 v29, v248, v250, s[74:75]                // 000000009794: D100001D 012BF5F8
	v_and_or_b32 v73, v29, v249, v28                           // 00000000979C: D2010049 0473F31D
	v_cmp_u_f32_e64 s[74:75], v76, v76                         // 0000000097A4: D048004A 0002994C
	v_bfe_u32 v248, v76, 16, 1                                 // 0000000097AC: D1C800F8 0205214C
	v_add3_u32 v248, v76, v248, v251                           // 0000000097B4: D1FF00F8 07EFF14C
	v_cndmask_b32_e64 v28, v248, v250, s[74:75]                // 0000000097BC: D100001C 012BF5F8
	v_lshrrev_b32_e32 v28, 16, v28                             // 0000000097C4: 20383890
	v_cmp_u_f32_e64 s[74:75], v77, v77                         // 0000000097C8: D048004A 00029B4D
	v_bfe_u32 v248, v77, 16, 1                                 // 0000000097D0: D1C800F8 0205214D
	v_add3_u32 v248, v77, v248, v251                           // 0000000097D8: D1FF00F8 07EFF14D
	v_cndmask_b32_e64 v29, v248, v250, s[74:75]                // 0000000097E0: D100001D 012BF5F8
	v_and_or_b32 v74, v29, v249, v28                           // 0000000097E8: D201004A 0473F31D
	v_mfma_f32_16x16x16_bf16 v[172:175], v[118:119], v[144:145], v[172:175]// 0000000097F0: D3E100AC 06B32176
	v_mov_b32_dpp v16, v72 quad_perm:[1,0,3,2] row_mask:0xf bank_mask:0xf// 0000000097F8: 7E2002FA FF00B148
	v_perm_b32 v48, v16, v72, v15                              // 000000009800: D1ED0030 043E9110
	v_mov_b32_dpp v16, v73 quad_perm:[1,0,3,2] row_mask:0xf bank_mask:0xf// 000000009808: 7E2002FA FF00B149
	v_mfma_f32_16x16x16_bf16 v[176:179], v[120:121], v[144:145], v[176:179]// 000000009810: D3E100B0 06C32178
	ds_write_b32 v18, v48 offset:17408                         // 000000009818: D81A4400 00003012
	v_mfma_f32_16x16x16_bf16 v[180:183], v[122:123], v[144:145], v[180:183]// 000000009820: D3E100B4 06D3217A
	v_perm_b32 v49, v16, v73, v15                              // 000000009828: D1ED0031 043E9310
	v_mov_b32_dpp v16, v74 quad_perm:[1,0,3,2] row_mask:0xf bank_mask:0xf// 000000009830: 7E2002FA FF00B14A
	v_perm_b32 v50, v16, v74, v15                              // 000000009838: D1ED0032 043E9510
	v_mfma_f32_16x16x16_bf16 v[184:187], v[108:109], v[146:147], v[184:187]// 000000009840: D3E100B8 06E3256C
	ds_write_b32 v18, v49 offset:17952                         // 000000009848: D81A4620 00003112
	v_mfma_f32_16x16x16_bf16 v[188:191], v[110:111], v[146:147], v[188:191]// 000000009850: D3E100BC 06F3256E
	v_subrev_f32_dpp v78, v150, v78 quad_perm:[2,2,2,2] row_mask:0xf bank_mask:0xf// 000000009858: 069C9CFA FF00AA96
	v_subrev_f32_dpp v79, v150, v79 quad_perm:[3,3,3,3] row_mask:0xf bank_mask:0xf// 000000009860: 069E9EFA FF00FF96
	v_subrev_f32_dpp v80, v150, v80 quad_perm:[0,0,0,0] row_mask:0xf bank_mask:0xf// 000000009868: 06A0A0FA FF000096
	v_mfma_f32_16x16x16_bf16 v[192:195], v[112:113], v[146:147], v[192:195]// 000000009870: D3E100C0 07032570
	ds_write_b32 v18, v50 offset:19712                         // 000000009878: D81A4D00 00003212
	v_mfma_f32_16x16x16_bf16 v[196:199], v[114:115], v[146:147], v[196:199]// 000000009880: D3E100C4 07132572
	v_subrev_f32_dpp v81, v150, v81 quad_perm:[1,1,1,1] row_mask:0xf bank_mask:0xf// 000000009888: 06A2A2FA FF005596
	v_subrev_f32_dpp v82, v150, v82 quad_perm:[2,2,2,2] row_mask:0xf bank_mask:0xf// 000000009890: 06A4A4FA FF00AA96
	v_subrev_f32_dpp v83, v150, v83 quad_perm:[3,3,3,3] row_mask:0xf bank_mask:0xf// 000000009898: 06A6A6FA FF00FF96
	v_mfma_f32_16x16x16_bf16 v[200:203], v[116:117], v[146:147], v[200:203]// 0000000098A0: D3E100C8 07232574
	v_mul_f32_e32 v78, v54, v78                                // 0000000098A8: 0A9C9D36
	v_mul_f32_e32 v79, v55, v79                                // 0000000098AC: 0A9E9F37
	v_mul_f32_e32 v80, v56, v80                                // 0000000098B0: 0AA0A138
	v_mfma_f32_16x16x16_bf16 v[204:207], v[118:119], v[146:147], v[204:207]// 0000000098B4: D3E100CC 07332576
	v_mul_f32_e32 v81, v57, v81                                // 0000000098BC: 0AA2A339
	v_mul_f32_e32 v82, v58, v82                                // 0000000098C0: 0AA4A53A
	v_mul_f32_e32 v83, v59, v83                                // 0000000098C4: 0AA6A73B
	v_mfma_f32_16x16x16_bf16 v[208:211], v[120:121], v[146:147], v[208:211]// 0000000098C8: D3E100D0 07432578
	v_cmp_u_f32_e64 s[74:75], v78, v78                         // 0000000098D0: D048004A 00029D4E
	v_bfe_u32 v248, v78, 16, 1                                 // 0000000098D8: D1C800F8 0205214E
	v_add3_u32 v248, v78, v248, v251                           // 0000000098E0: D1FF00F8 07EFF14E
	v_cndmask_b32_e64 v28, v248, v250, s[74:75]                // 0000000098E8: D100001C 012BF5F8
	v_lshrrev_b32_e32 v28, 16, v28                             // 0000000098F0: 20383890
	v_cmp_u_f32_e64 s[74:75], v79, v79                         // 0000000098F4: D048004A 00029F4F
	v_bfe_u32 v248, v79, 16, 1                                 // 0000000098FC: D1C800F8 0205214F
	v_add3_u32 v248, v79, v248, v251                           // 000000009904: D1FF00F8 07EFF14F
	v_cndmask_b32_e64 v29, v248, v250, s[74:75]                // 00000000990C: D100001D 012BF5F8
	v_and_or_b32 v75, v29, v249, v28                           // 000000009914: D201004B 0473F31D
	v_cmp_u_f32_e64 s[74:75], v80, v80                         // 00000000991C: D048004A 0002A150
	v_bfe_u32 v248, v80, 16, 1                                 // 000000009924: D1C800F8 02052150
	v_add3_u32 v248, v80, v248, v251                           // 00000000992C: D1FF00F8 07EFF150
	v_cndmask_b32_e64 v28, v248, v250, s[74:75]                // 000000009934: D100001C 012BF5F8
	v_lshrrev_b32_e32 v28, 16, v28                             // 00000000993C: 20383890
	v_cmp_u_f32_e64 s[74:75], v81, v81                         // 000000009940: D048004A 0002A351
	v_bfe_u32 v248, v81, 16, 1                                 // 000000009948: D1C800F8 02052151
	v_add3_u32 v248, v81, v248, v251                           // 000000009950: D1FF00F8 07EFF151
	v_cndmask_b32_e64 v29, v248, v250, s[74:75]                // 000000009958: D100001D 012BF5F8
	v_and_or_b32 v76, v29, v249, v28                           // 000000009960: D201004C 0473F31D
	v_cmp_u_f32_e64 s[74:75], v82, v82                         // 000000009968: D048004A 0002A552
	v_bfe_u32 v248, v82, 16, 1                                 // 000000009970: D1C800F8 02052152
	v_add3_u32 v248, v82, v248, v251                           // 000000009978: D1FF00F8 07EFF152
	v_cndmask_b32_e64 v28, v248, v250, s[74:75]                // 000000009980: D100001C 012BF5F8
	v_lshrrev_b32_e32 v28, 16, v28                             // 000000009988: 20383890
	v_cmp_u_f32_e64 s[74:75], v83, v83                         // 00000000998C: D048004A 0002A753
	v_bfe_u32 v248, v83, 16, 1                                 // 000000009994: D1C800F8 02052153
	v_add3_u32 v248, v83, v248, v251                           // 00000000999C: D1FF00F8 07EFF153
	v_cndmask_b32_e64 v29, v248, v250, s[74:75]                // 0000000099A4: D100001D 012BF5F8
	v_and_or_b32 v77, v29, v249, v28                           // 0000000099AC: D201004D 0473F31D
	v_mfma_f32_16x16x16_bf16 v[212:215], v[122:123], v[146:147], v[212:215]// 0000000099B4: D3E100D4 0753257A
	v_mov_b32_dpp v16, v75 quad_perm:[1,0,3,2] row_mask:0xf bank_mask:0xf// 0000000099BC: 7E2002FA FF00B14B
	v_perm_b32 v51, v16, v75, v15                              // 0000000099C4: D1ED0033 043E9710
	v_mov_b32_dpp v16, v76 quad_perm:[1,0,3,2] row_mask:0xf bank_mask:0xf// 0000000099CC: 7E2002FA FF00B14C
	v_mfma_f32_16x16x16_bf16 v[216:219], v[108:109], v[148:149], v[216:219]// 0000000099D4: D3E100D8 0763296C
	ds_write_b32 v18, v51 offset:20256                         // 0000000099DC: D81A4F20 00003312
	v_mfma_f32_16x16x16_bf16 v[220:223], v[110:111], v[148:149], v[220:223]// 0000000099E4: D3E100DC 0773296E
	v_perm_b32 v52, v16, v76, v15                              // 0000000099EC: D1ED0034 043E9910
	v_mov_b32_dpp v16, v77 quad_perm:[1,0,3,2] row_mask:0xf bank_mask:0xf// 0000000099F4: 7E2002FA FF00B14D
	v_perm_b32 v53, v16, v77, v15                              // 0000000099FC: D1ED0035 043E9B10
	v_mfma_f32_16x16x16_bf16 v[224:227], v[112:113], v[148:149], v[224:227]// 000000009A04: D3E100E0 07832970
	ds_write_b32 v18, v52 offset:22016                         // 000000009A0C: D81A5600 00003412
	ds_write_b32 v18, v53 offset:22560                         // 000000009A14: D81A5820 00003512
	v_mfma_f32_16x16x16_bf16 v[228:231], v[114:115], v[148:149], v[228:231]// 000000009A1C: D3E100E4 07932972
	v_mfma_f32_16x16x16_bf16 v[232:235], v[116:117], v[148:149], v[232:235]// 000000009A24: D3E100E8 07A32974
	ds_write_b32 v13, v84 offset:4352                          // 000000009A2C: D81A1100 0000540D
	ds_write_b32 v13, v85 offset:5408                          // 000000009A34: D81A1520 0000550D
	v_mfma_f32_16x16x16_bf16 v[236:239], v[118:119], v[148:149], v[236:239]// 000000009A3C: D3E100EC 07B32976
	v_mfma_f32_16x16x16_bf16 v[240:243], v[120:121], v[148:149], v[240:243]// 000000009A44: D3E100F0 07C32978
	ds_write_b32 v13, v86 offset:4480                          // 000000009A4C: D81A1180 0000560D
	ds_write_b32 v13, v87 offset:5536                          // 000000009A54: D81A15A0 0000570D
	v_mfma_f32_16x16x16_bf16 v[244:247], v[122:123], v[148:149], v[244:247]// 000000009A5C: D3E100F4 07D3297A
	s_nop 0                                                    // 000000009A64: BF800000
	s_nop 0                                                    // 000000009A68: BF800000
	s_nop 0                                                    // 000000009A6C: BF800000
	s_barrier                                                  // 000000009A70: BF8A0000
	v_mfma_f32_16x16x16_bf16 a[160:163], a[144:145], v[72:73], a[160:163]// 000000009A74: D3E180A0 0E829190
	ds_read_b32 v124, v21 offset:51200                         // 000000009A7C: D86CC800 7C000015
	ds_read_b32 v150, v21 offset:51456                         // 000000009A84: D86CC900 96000015
	v_mfma_f32_16x16x16_bf16 a[164:167], a[146:147], v[72:73], a[164:167]// 000000009A8C: D3E180A4 0E929192
	buffer_atomic_add_f32 v136, v7, s[32:35], 0 offen          // 000000009A94: E1341000 80088807
	v_mfma_f32_16x16x16_bf16 a[168:171], a[148:149], v[72:73], a[168:171]// 000000009A9C: D3E180A8 0EA29194
	s_waitcnt lgkmcnt(6)                                       // 000000009AA4: BF8CC67F
	s_barrier                                                  // 000000009AA8: BF8A0000
	v_mfma_f32_16x16x16_bf16 a[172:175], a[150:151], v[72:73], a[172:175]// 000000009AAC: D3E180AC 0EB29196
	v_mfma_f32_16x16x16_bf16 a[176:179], a[152:153], v[72:73], a[176:179]// 000000009AB4: D3E180B0 0EC29198
	ds_read_b128 v[48:51], v17 offset:17408                    // 000000009ABC: D9FE4400 30000011
	v_mfma_f32_16x16x16_bf16 a[180:183], a[154:155], v[72:73], a[180:183]// 000000009AC4: D3E180B4 0ED2919A
	v_mfma_f32_16x16x16_bf16 a[184:187], a[156:157], v[72:73], a[184:187]// 000000009ACC: D3E180B8 0EE2919C
	ds_read_b128 v[52:55], v17 offset:18560                    // 000000009AD4: D9FE4880 34000011
	v_mfma_f32_16x16x16_bf16 a[188:191], a[158:159], v[72:73], a[188:191]// 000000009ADC: D3E180BC 0EF2919E
	buffer_atomic_add_f32 v137, v8, s[32:35], 0 offen          // 000000009AE4: E1341000 80088908
	v_mfma_f32_16x16x16_bf16 a[192:195], a[144:145], v[74:75], a[192:195]// 000000009AEC: D3E180C0 0F029590
	ds_read_b128 v[56:59], v17 offset:19712                    // 000000009AF4: D9FE4D00 38000011
	v_mfma_f32_16x16x16_bf16 a[196:199], a[146:147], v[74:75], a[196:199]// 000000009AFC: D3E180C4 0F129592
	v_mfma_f32_16x16x16_bf16 a[200:203], a[148:149], v[74:75], a[200:203]// 000000009B04: D3E180C8 0F229594
	ds_read_b128 v[60:63], v17 offset:20864                    // 000000009B0C: D9FE5180 3C000011
	v_mfma_f32_16x16x16_bf16 a[204:207], a[150:151], v[74:75], a[204:207]// 000000009B14: D3E180CC 0F329596
	v_mfma_f32_16x16x16_bf16 a[208:211], a[152:153], v[74:75], a[208:211]// 000000009B1C: D3E180D0 0F429598
	ds_read_b128 v[64:67], v17 offset:22016                    // 000000009B24: D9FE5600 40000011
	v_mfma_f32_16x16x16_bf16 a[212:215], a[154:155], v[74:75], a[212:215]// 000000009B2C: D3E180D4 0F52959A
	buffer_atomic_add_f32 v138, v7, s[32:35], 0 offen offset:128// 000000009B34: E1341080 80088A07
	v_mfma_f32_16x16x16_bf16 a[216:219], a[156:157], v[74:75], a[216:219]// 000000009B3C: D3E180D8 0F62959C
	ds_read_b128 v[68:71], v17 offset:23168                    // 000000009B44: D9FE5A80 44000011
	v_mfma_f32_16x16x16_bf16 a[220:223], a[158:159], v[74:75], a[220:223]// 000000009B4C: D3E180DC 0F72959E
	v_mfma_f32_16x16x16_bf16 a[224:227], a[144:145], v[76:77], a[224:227]// 000000009B54: D3E180E0 0F829990
	ds_write_b32 v13, v88 offset:13056                         // 000000009B5C: D81A3300 0000580D
	v_mfma_f32_16x16x16_bf16 a[228:231], a[146:147], v[76:77], a[228:231]// 000000009B64: D3E180E4 0F929992
	v_mfma_f32_16x16x16_bf16 a[232:235], a[148:149], v[76:77], a[232:235]// 000000009B6C: D3E180E8 0FA29994
	ds_write_b32 v13, v89 offset:14112                         // 000000009B74: D81A3720 0000590D
	v_mfma_f32_16x16x16_bf16 a[236:239], a[150:151], v[76:77], a[236:239]// 000000009B7C: D3E180EC 0FB29996
	buffer_atomic_add_f32 v139, v8, s[32:35], 0 offen offset:128// 000000009B84: E1341080 80088B08
	v_mfma_f32_16x16x16_bf16 a[240:243], a[152:153], v[76:77], a[240:243]// 000000009B8C: D3E180F0 0FC29998
	ds_write_b32 v13, v90 offset:13184                         // 000000009B94: D81A3380 00005A0D
	v_mfma_f32_16x16x16_bf16 a[244:247], a[154:155], v[76:77], a[244:247]// 000000009B9C: D3E180F4 0FD2999A
	v_mfma_f32_16x16x16_bf16 a[248:251], a[156:157], v[76:77], a[248:251]// 000000009BA4: D3E180F8 0FE2999C
	ds_write_b32 v13, v91 offset:14240                         // 000000009BAC: D81A37A0 00005B0D
	v_mfma_f32_16x16x16_bf16 a[252:255], a[158:159], v[76:77], a[252:255]// 000000009BB4: D3E180FC 0FF2999E
	s_waitcnt vmcnt(8) lgkmcnt(4)                              // 000000009BBC: BF8C0478
	s_barrier                                                  // 000000009BC0: BF8A0000
	v_mfma_f32_16x16x16_bf16 v[128:131], v[48:49], a[48:49], 0 // 000000009BC4: D3E10080 12026130
	ds_read_b128 a[144:147], v10                               // 000000009BCC: DBFE0000 9000000A
	v_mov_b32_e32 v36, 0                                       // 000000009BD4: 7E480280
	s_mov_b64 exec, s[88:89]                                   // 000000009BD8: BEFE0158
	buffer_load_dword v36, v1, s[8:11], 0 idxen                // 000000009BDC: E0502000 80022401
	s_mov_b64 exec, s[86:87]                                   // 000000009BE4: BEFE0156
	v_mfma_f32_16x16x16_bf16 v[128:131], v[50:51], a[52:53], v[128:131]// 000000009BE8: D3E10080 16026932
	v_cmp_eq_u32_e32 vcc, v124, v151                           // 000000009BF0: 7D952F7C
	v_mov_b32_e32 v28, 0                                       // 000000009BF4: 7E380280
	v_cndmask_b32_e32 v124, v124, v28, vcc                     // 000000009BF8: 00F8397C
	v_mul_f32_e32 v124, s48, v124                              // 000000009BFC: 0AF8F830
	s_nop 0                                                    // 000000009C00: BF800000
	v_mfma_f32_16x16x16_bf16 v[128:131], v[52:53], a[56:57], v[128:131]// 000000009C04: D3E10080 16027134
	ds_read_b128 a[148:151], v10 offset:512                    // 000000009C0C: DBFE0200 9400000A
	v_mov_b32_e32 v37, 0                                       // 000000009C14: 7E4A0280
	s_mov_b64 exec, s[88:89]                                   // 000000009C18: BEFE0158
	buffer_load_dword v37, v2, s[8:11], 0 idxen                // 000000009C1C: E0502000 80022502
	s_mov_b64 exec, s[86:87]                                   // 000000009C24: BEFE0156
	v_mfma_f32_16x16x16_bf16 v[128:131], v[54:55], a[60:61], v[128:131]// 000000009C28: D3E10080 16027936
	v_mfma_f32_16x16x16_bf16 v[128:131], v[56:57], a[64:65], v[128:131]// 000000009C30: D3E10080 16028138
	ds_read_b128 a[152:155], v10 offset:2176                   // 000000009C38: DBFE0880 9800000A
	v_mov_b32_e32 v38, 0                                       // 000000009C40: 7E4C0280
	s_mov_b64 exec, s[88:89]                                   // 000000009C44: BEFE0158
	buffer_load_dword v38, v3, s[8:11], 0 idxen                // 000000009C48: E0502000 80022603
	s_mov_b64 exec, s[86:87]                                   // 000000009C50: BEFE0156
	v_mfma_f32_16x16x16_bf16 v[128:131], v[58:59], a[68:69], v[128:131]// 000000009C54: D3E10080 1602893A
	v_perm_b32 v84, v33, v32, s63                              // 000000009C5C: D1ED0054 00FE4121
	v_perm_b32 v85, v33, v32, s64                              // 000000009C64: D1ED0055 01024121
	v_mfma_f32_16x16x16_bf16 v[128:131], v[60:61], a[72:73], v[128:131]// 000000009C6C: D3E10080 1602913C
	ds_read_b128 a[156:159], v10 offset:2688                   // 000000009C74: DBFE0A80 9C00000A
	v_mov_b32_e32 v39, 0                                       // 000000009C7C: 7E4E0280
	s_mov_b64 exec, s[88:89]                                   // 000000009C80: BEFE0158
	buffer_load_dword v39, v4, s[8:11], 0 idxen                // 000000009C84: E0502000 80022704
	s_mov_b64 exec, s[86:87]                                   // 000000009C8C: BEFE0156
	v_mfma_f32_16x16x16_bf16 v[128:131], v[62:63], a[76:77], v[128:131]// 000000009C90: D3E10080 1602993E
	v_perm_b32 v86, v35, v34, s63                              // 000000009C98: D1ED0056 00FE4523
	v_perm_b32 v87, v35, v34, s64                              // 000000009CA0: D1ED0057 01024523
	v_mfma_f32_16x16x16_bf16 v[128:131], v[64:65], a[80:81], v[128:131]// 000000009CA8: D3E10080 1602A140
	ds_read_b128 v[92:95], v10 offset:8704                     // 000000009CB0: D9FE2200 5C00000A
	v_mov_b32_e32 v44, 0                                       // 000000009CB8: 7E580280
	s_mov_b64 exec, s[88:89]                                   // 000000009CBC: BEFE0158
	buffer_load_dword v44, v252, s[20:23], 0 idxen             // 000000009CC0: E0502000 80052CFC
	s_mov_b64 exec, s[86:87]                                   // 000000009CC8: BEFE0156
	v_mfma_f32_16x16x16_bf16 v[128:131], v[66:67], a[84:85], v[128:131]// 000000009CCC: D3E10080 1602A942
	v_perm_b32 v88, v41, v40, s63                              // 000000009CD4: D1ED0058 00FE5129
	v_perm_b32 v89, v41, v40, s64                              // 000000009CDC: D1ED0059 01025129
	v_mfma_f32_16x16x16_bf16 v[128:131], v[68:69], a[88:89], v[128:131]// 000000009CE4: D3E10080 1602B144
	ds_read_b128 v[96:99], v10 offset:9216                     // 000000009CEC: D9FE2400 6000000A
	v_mov_b32_e32 v45, 0                                       // 000000009CF4: 7E5A0280
	s_mov_b64 exec, s[88:89]                                   // 000000009CF8: BEFE0158
	buffer_load_dword v45, v253, s[20:23], 0 idxen             // 000000009CFC: E0502000 80052DFD
	s_mov_b64 exec, s[86:87]                                   // 000000009D04: BEFE0156
	v_mfma_f32_16x16x16_bf16 v[128:131], v[70:71], a[92:93], v[128:131]// 000000009D08: D3E10080 1602B946
	v_perm_b32 v90, v43, v42, s63                              // 000000009D10: D1ED005A 00FE552B
	v_perm_b32 v91, v43, v42, s64                              // 000000009D18: D1ED005B 0102552B
	v_mfma_f32_16x16x16_bf16 v[132:135], v[48:49], a[50:51], 0 // 000000009D20: D3E10084 12026530
	ds_read_b128 v[100:103], v10 offset:10880                  // 000000009D28: D9FE2A80 6400000A
	v_mov_b32_e32 v46, 0                                       // 000000009D30: 7E5C0280
	s_mov_b64 exec, s[88:89]                                   // 000000009D34: BEFE0158
	buffer_load_dword v46, v254, s[20:23], 0 idxen             // 000000009D38: E0502000 80052EFE
	s_mov_b64 exec, s[86:87]                                   // 000000009D40: BEFE0156
	v_mfma_f32_16x16x16_bf16 v[132:135], v[50:51], a[54:55], v[132:135]// 000000009D44: D3E10084 16126D32
	v_mov_b32_dpp v127, v124 quad_perm:[3,3,3,3] row_mask:0xf bank_mask:0xf// 000000009D4C: 7EFE02FA FF00FF7C
	v_mov_b32_dpp v126, v124 quad_perm:[2,2,2,2] row_mask:0xf bank_mask:0xf// 000000009D54: 7EFC02FA FF00AA7C
	v_mfma_f32_16x16x16_bf16 v[132:135], v[52:53], a[58:59], v[132:135]// 000000009D5C: D3E10084 16127534
	ds_read_b128 v[104:107], v10 offset:11392                  // 000000009D64: D9FE2C80 6800000A
	v_mov_b32_e32 v47, 0                                       // 000000009D6C: 7E5E0280
	s_mov_b64 exec, s[88:89]                                   // 000000009D70: BEFE0158
	buffer_load_dword v47, v255, s[20:23], 0 idxen             // 000000009D74: E0502000 80052FFF
	s_mov_b64 exec, s[86:87]                                   // 000000009D7C: BEFE0156
	v_mfma_f32_16x16x16_bf16 v[132:135], v[54:55], a[62:63], v[132:135]// 000000009D80: D3E10084 16127D36
	v_mov_b32_dpp v125, v124 quad_perm:[1,1,1,1] row_mask:0xf bank_mask:0xf// 000000009D88: 7EFA02FA FF00557C
	v_mov_b32_dpp v124, v124 quad_perm:[0,0,0,0] row_mask:0xf bank_mask:0xf// 000000009D90: 7EF802FA FF00007C
	s_add_u32 s60, 64, s59                                     // 000000009D98: 803C3BC0
	v_mfma_f32_16x16x16_bf16 v[132:135], v[56:57], a[66:67], v[132:135]// 000000009D9C: D3E10084 16128538
	buffer_load_dword v9, s[24:27], 0 idxen lds                // 000000009DA4: E0512000 80060009
	v_mfma_f32_16x16x16_bf16 v[132:135], v[58:59], a[70:71], v[132:135]// 000000009DAC: D3E10084 16128D3A
	s_cmp_lt_u32 s60, s58                                      // 000000009DB4: BF0A3A3C
	s_cselect_b32 s68, s68, 0                                  // 000000009DB8: 85448044
	s_cselect_b32 s97, s97, 0                                  // 000000009DBC: 85618061
	s_cselect_b32 s69, s69, 0                                  // 000000009DC0: 85458045
	v_mfma_f32_16x16x16_bf16 v[132:135], v[60:61], a[74:75], v[132:135]// 000000009DC4: D3E10084 1612953C
	v_add_u32_e32 v1, s68, v1                                  // 000000009DCC: 68020244
	v_add_u32_e32 v2, s68, v2                                  // 000000009DD0: 68040444
	v_add_u32_e32 v3, s68, v3                                  // 000000009DD4: 68060644
	v_add_u32_e32 v4, s68, v4                                  // 000000009DD8: 68080844
	v_mfma_f32_16x16x16_bf16 v[132:135], v[62:63], a[78:79], v[132:135]// 000000009DDC: D3E10084 16129D3E
	v_add_u32_e32 v252, s97, v252                              // 000000009DE4: 69F9F861
	v_add_u32_e32 v253, s97, v253                              // 000000009DE8: 69FBFA61
	v_add_u32_e32 v254, s97, v254                              // 000000009DEC: 69FDFC61
	v_add_u32_e32 v255, s97, v255                              // 000000009DF0: 69FFFE61
	v_mfma_f32_16x16x16_bf16 v[132:135], v[64:65], a[82:83], v[132:135]// 000000009DF4: D3E10084 1612A540
	s_mov_b32 m0, s76                                          // 000000009DFC: BEFC004C
	v_add_u32_e32 v9, s69, v9                                  // 000000009E00: 68121245
	v_mfma_f32_16x16x16_bf16 v[132:135], v[66:67], a[86:87], v[132:135]// 000000009E04: D3E10084 1612AD42
	s_cmp_ge_u32 s59, s101                                     // 000000009E0C: BF09653B
	s_cselect_b32 s66, s67, s66                                // 000000009E10: 85424243
	v_mfma_f32_16x16x16_bf16 v[132:135], v[68:69], a[90:91], v[132:135]// 000000009E14: D3E10084 1612B544
	s_addk_i32 s59, 0x10                                       // 000000009E1C: B73B0010
	s_nop 0                                                    // 000000009E20: BF800000
	s_cmp_lt_i32 s59, s58                                      // 000000009E24: BF043A3B
	v_mfma_f32_16x16x16_bf16 v[132:135], v[70:71], a[94:95], v[132:135]// 000000009E28: D3E10084 1612BD46
	s_cbranch_scc0 label_1361                                  // 000000009E30: BF84FB48
	s_waitcnt lgkmcnt(0)                                       // 000000009E34: BF8CC07F
	s_barrier                                                  // 000000009E38: BF8A0000
	v_mfma_f32_16x16x16_bf16 v[48:51], a[144:145], a[0:1], 0   // 000000009E3C: D3E10030 1A020190
	v_mul_f32_e32 v128, s47, v128                              // 000000009E44: 0B01002F
	v_mul_f32_e32 v129, s47, v129                              // 000000009E48: 0B03022F
	v_mfma_f32_16x16x16_bf16 v[48:51], a[146:147], a[2:3], v[48:51]// 000000009E4C: D3E10030 1CC20592
	ds_write_b32 v11, v40 offset:8704                          // 000000009E54: D81A2200 0000280B
	ds_write_b32 v11, v41 offset:9760                          // 000000009E5C: D81A2620 0000290B
	v_mfma_f32_16x16x16_bf16 v[48:51], a[148:149], a[4:5], v[48:51]// 000000009E64: D3E10030 1CC20994
	v_mul_f32_e32 v130, s47, v130                              // 000000009E6C: 0B05042F
	v_mul_f32_e32 v131, s47, v131                              // 000000009E70: 0B07062F
	v_mfma_f32_16x16x16_bf16 v[48:51], a[150:151], a[6:7], v[48:51]// 000000009E74: D3E10030 1CC20D96
	ds_write_b32 v11, v42 offset:8832                          // 000000009E7C: D81A2280 00002A0B
	ds_write_b32 v11, v43 offset:9888                          // 000000009E84: D81A26A0 00002B0B
	v_mfma_f32_16x16x16_bf16 v[48:51], a[152:153], a[8:9], v[48:51]// 000000009E8C: D3E10030 1CC21198
	v_mul_f32_e32 v132, s47, v132                              // 000000009E94: 0B09082F
	v_mul_f32_e32 v133, s47, v133                              // 000000009E98: 0B0B0A2F
	v_mfma_f32_16x16x16_bf16 v[48:51], a[154:155], a[10:11], v[48:51]// 000000009E9C: D3E10030 1CC2159A
	ds_write_b64 v20, v[128:129] offset:24320                  // 000000009EA4: D89A5F00 00008014
	v_mfma_f32_16x16x16_bf16 v[48:51], a[156:157], a[12:13], v[48:51]// 000000009EAC: D3E10030 1CC2199C
	v_mul_f32_e32 v134, s47, v134                              // 000000009EB4: 0B0D0C2F
	v_mul_f32_e32 v135, s47, v135                              // 000000009EB8: 0B0F0E2F
	v_mfma_f32_16x16x16_bf16 v[48:51], a[158:159], a[14:15], v[48:51]// 000000009EBC: D3E10030 1CC21D9E
	ds_write_b64 v20, v[130:131] offset:24832                  // 000000009EC4: D89A6100 00008214
	v_mfma_f32_16x16x16_bf16 v[52:55], a[144:145], a[16:17], 0 // 000000009ECC: D3E10034 1A022190
	buffer_atomic_add_f32 v140, v7, s[32:35], 0 offen offset:256// 000000009ED4: E1341100 80088C07
	v_mfma_f32_16x16x16_bf16 v[52:55], a[146:147], a[18:19], v[52:55]// 000000009EDC: D3E10034 1CD22592
	ds_write_b64 v20, v[132:133] offset:25344                  // 000000009EE4: D89A6300 00008414
	v_mfma_f32_16x16x16_bf16 v[52:55], a[148:149], a[20:21], v[52:55]// 000000009EEC: D3E10034 1CD22994
	v_mfma_f32_16x16x16_bf16 v[52:55], a[150:151], a[22:23], v[52:55]// 000000009EF4: D3E10034 1CD22D96
	ds_write_b64 v20, v[134:135] offset:25856                  // 000000009EFC: D89A6500 00008614
	v_mfma_f32_16x16x16_bf16 v[52:55], a[152:153], a[24:25], v[52:55]// 000000009F04: D3E10034 1CD23198
	buffer_atomic_add_f32 v141, v8, s[32:35], 0 offen offset:256// 000000009F0C: E1341100 80088D08
	v_mfma_f32_16x16x16_bf16 v[52:55], a[154:155], a[26:27], v[52:55]// 000000009F14: D3E10034 1CD2359A
	ds_read_b128 v[108:111], v12 offset:13056                  // 000000009F1C: D9FE3300 6C00000C
	ds_write_b32 v11, v32                                      // 000000009F24: D81A0000 0000200B
	v_mfma_f32_16x16x16_bf16 v[52:55], a[156:157], a[28:29], v[52:55]// 000000009F2C: D3E10034 1CD2399C
	v_mfma_f32_16x16x16_bf16 v[52:55], a[158:159], a[30:31], v[52:55]// 000000009F34: D3E10034 1CD23D9E
	v_mfma_f32_16x16x16_bf16 v[56:59], a[144:145], a[32:33], 0 // 000000009F3C: D3E10038 1A024190
	ds_read_b128 v[112:115], v12 offset:13568                  // 000000009F44: D9FE3500 7000000C
	ds_write_b32 v11, v33 offset:1056                          // 000000009F4C: D81A0420 0000210B
	v_mfma_f32_16x16x16_bf16 v[56:59], a[146:147], a[34:35], v[56:59]// 000000009F54: D3E10038 1CE24592
	buffer_atomic_add_f32 v142, v7, s[32:35], 0 offen offset:384// 000000009F5C: E1341180 80088E07
	v_mfma_f32_16x16x16_bf16 v[56:59], a[148:149], a[36:37], v[56:59]// 000000009F64: D3E10038 1CE24994
	v_mfma_f32_16x16x16_bf16 v[56:59], a[150:151], a[38:39], v[56:59]// 000000009F6C: D3E10038 1CE24D96
	ds_read_b128 v[116:119], v12 offset:15232                  // 000000009F74: D9FE3B80 7400000C
	ds_write_b32 v11, v34 offset:128                           // 000000009F7C: D81A0080 0000220B
	v_mfma_f32_16x16x16_bf16 v[56:59], a[152:153], a[40:41], v[56:59]// 000000009F84: D3E10038 1CE25198
	v_mfma_f32_16x16x16_bf16 v[56:59], a[154:155], a[42:43], v[56:59]// 000000009F8C: D3E10038 1CE2559A
	buffer_atomic_add_f32 v143, v8, s[32:35], 0 offen offset:384// 000000009F94: E1341180 80088F08
	v_mfma_f32_16x16x16_bf16 v[56:59], a[156:157], a[44:45], v[56:59]// 000000009F9C: D3E10038 1CE2599C
	ds_read_b128 v[120:123], v12 offset:15744                  // 000000009FA4: D9FE3D80 7800000C
	ds_write_b32 v11, v35 offset:1184                          // 000000009FAC: D81A04A0 0000230B
	v_mfma_f32_16x16x16_bf16 v[56:59], a[158:159], a[46:47], v[56:59]// 000000009FB4: D3E10038 1CE25D9E
	s_add_i32 s82, s59, s99                                    // 000000009FBC: 8152633B
	s_sub_i32 s82, s82, 1                                      // 000000009FC0: 81D28152
	s_add_i32 s81, s59, 16                                     // 000000009FC4: 8151903B
	s_sub_i32 s81, s81, s100                                   // 000000009FC8: 81D16451
	s_add_i32 s81, s81, 1                                      // 000000009FCC: 81518151
	s_branch label_1887                                        // 000000009FD0: BF820000

0000000000009fd4 <label_1887>:
	s_add_i32 s62, 0, s46                                      // 000000009FD4: 813E2E80
	s_mul_i32 s62, s62, 16                                     // 000000009FD8: 923E903E
	s_add_i32 s62, s80, s62                                    // 000000009FDC: 813E3E50
	s_add_i32 s61, s62, 16                                     // 000000009FE0: 813D903E
	s_add_i32 s61, s61, 16                                     // 000000009FE4: 813D903D
	s_cmp_lt_i32 s61, s81                                      // 000000009FE8: BF04513D
	s_cselect_b32 s60, 1, 0                                    // 000000009FEC: 853C8081
	s_sub_i32 s62, s62, 16                                     // 000000009FF0: 81BE903E
	s_cmp_gt_i32 s62, s82                                      // 000000009FF4: BF02523E
	s_cselect_b32 s61, 1, 0                                    // 000000009FF8: 853D8081
	s_or_b32 s60, s60, s61                                     // 000000009FFC: 873C3D3C
	s_cmp_eq_i32 s60, 1                                        // 00000000A000: BF00813C
	s_cbranch_scc1 label_191A                                  // 00000000A004: BF850085
	s_add_i32 s61, s62, 32                                     // 00000000A008: 813DA03E
	s_add_i32 s62, s62, 16                                     // 00000000A00C: 813E903E
	s_cmp_lt_i32 s62, s81                                      // 00000000A010: BF04513E
	s_cselect_b32 s60, 1, 0                                    // 00000000A014: 853C8081
	s_cmp_gt_i32 s61, s82                                      // 00000000A018: BF02523D
	s_cselect_b32 s61, 1, 0                                    // 00000000A01C: 853D8081
	s_or_b32 s60, s60, s61                                     // 00000000A020: 873C3D3C
	s_cmp_eq_i32 s60, 1                                        // 00000000A024: BF00813C
	s_cbranch_scc1 label_18CD                                  // 00000000A028: BF85002F
	s_branch label_189E                                        // 00000000A02C: BF820000

000000000000a030 <label_189E>:
	s_add_i32 s62, 4, s46                                      // 00000000A030: 813E2E84
	s_mul_i32 s62, s62, 16                                     // 00000000A034: 923E903E
	s_add_i32 s62, s80, s62                                    // 00000000A038: 813E3E50
	s_add_i32 s61, s62, 16                                     // 00000000A03C: 813D903E
	s_add_i32 s61, s61, 16                                     // 00000000A040: 813D903D
	s_cmp_lt_i32 s61, s81                                      // 00000000A044: BF04513D
	s_cselect_b32 s60, 1, 0                                    // 00000000A048: 853C8081
	s_sub_i32 s62, s62, 16                                     // 00000000A04C: 81BE903E
	s_cmp_gt_i32 s62, s82                                      // 00000000A050: BF02523E
	s_cselect_b32 s61, 1, 0                                    // 00000000A054: 853D8081
	s_or_b32 s60, s60, s61                                     // 00000000A058: 873C3D3C
	s_cmp_eq_i32 s60, 1                                        // 00000000A05C: BF00813C
	s_cbranch_scc1 label_196C                                  // 00000000A060: BF8500C0
	s_add_i32 s61, s62, 32                                     // 00000000A064: 813DA03E
	s_add_i32 s62, s62, 16                                     // 00000000A068: 813E903E
	s_cmp_lt_i32 s62, s81                                      // 00000000A06C: BF04513E
	s_cselect_b32 s60, 1, 0                                    // 00000000A070: 853C8081
	s_cmp_gt_i32 s61, s82                                      // 00000000A074: BF02523D
	s_cselect_b32 s61, 1, 0                                    // 00000000A078: 853D8081
	s_or_b32 s60, s60, s61                                     // 00000000A07C: 873C3D3C
	s_cmp_eq_i32 s60, 1                                        // 00000000A080: BF00813C
	s_cbranch_scc1 label_191F                                  // 00000000A084: BF85006A
	s_branch label_18B5                                        // 00000000A088: BF820000

000000000000a08c <label_18B5>:
	s_add_i32 s62, 8, s46                                      // 00000000A08C: 813E2E88
	s_mul_i32 s62, s62, 16                                     // 00000000A090: 923E903E
	s_add_i32 s62, s80, s62                                    // 00000000A094: 813E3E50
	s_add_i32 s61, s62, 16                                     // 00000000A098: 813D903E
	s_add_i32 s61, s61, 16                                     // 00000000A09C: 813D903D
	s_cmp_lt_i32 s61, s81                                      // 00000000A0A0: BF04513D
	s_cselect_b32 s60, 1, 0                                    // 00000000A0A4: 853C8081
	s_sub_i32 s62, s62, 16                                     // 00000000A0A8: 81BE903E
	s_cmp_gt_i32 s62, s82                                      // 00000000A0AC: BF02523E
	s_cselect_b32 s61, 1, 0                                    // 00000000A0B0: 853D8081
	s_or_b32 s60, s60, s61                                     // 00000000A0B4: 873C3D3C
	s_cmp_eq_i32 s60, 1                                        // 00000000A0B8: BF00813C
	s_cbranch_scc1 label_19BE                                  // 00000000A0BC: BF8500FB
	s_add_i32 s61, s62, 32                                     // 00000000A0C0: 813DA03E
	s_add_i32 s62, s62, 16                                     // 00000000A0C4: 813E903E
	s_cmp_lt_i32 s62, s81                                      // 00000000A0C8: BF04513E
	s_cselect_b32 s60, 1, 0                                    // 00000000A0CC: 853C8081
	s_cmp_gt_i32 s61, s82                                      // 00000000A0D0: BF02523D
	s_cselect_b32 s61, 1, 0                                    // 00000000A0D4: 853D8081
	s_or_b32 s60, s60, s61                                     // 00000000A0D8: 873C3D3C
	s_cmp_eq_i32 s60, 1                                        // 00000000A0DC: BF00813C
	s_cbranch_scc1 label_1971                                  // 00000000A0E0: BF8500A5
	s_branch label_19C3                                        // 00000000A0E4: BF8200F6

000000000000a0e8 <label_18CD>:
	v_and_b32_e32 v28, 15, v0                                  // 00000000A0E8: 2638008F
	v_add_u32_e32 v28, s62, v28                                // 00000000A0EC: 6838383E
	v_lshrrev_b32_e32 v29, 4, v0                               // 00000000A0F0: 203A0084
	v_lshlrev_b32_e32 v29, 2, v29                              // 00000000A0F4: 243A3A82
	v_add_i32 v29, 0, v29                                      // 00000000A0F8: D29C001D 00023A80
	v_add_i32 v29, s59, v29                                    // 00000000A100: D29C001D 00023A3B
	v_sub_i32 v29, v29, v28                                    // 00000000A108: D29D001D 0002391D
	v_cmp_ge_i32_e64 vcc, v29, s100                            // 00000000A110: D0C6006A 0000C91D
	v_sub_i32 v29, 0, v29                                      // 00000000A118: D29D001D 00023A80
	v_cndmask_b32_e32 v48, v48, v151, vcc                      // 00000000A120: 00612F30
	v_cmp_ge_i32_e64 vcc, v29, s99                             // 00000000A124: D0C6006A 0000C71D
	s_nop 1                                                    // 00000000A12C: BF800001
	v_cndmask_b32_e32 v48, v48, v151, vcc                      // 00000000A130: 00612F30
	v_and_b32_e32 v28, 15, v0                                  // 00000000A134: 2638008F
	v_add_u32_e32 v28, s62, v28                                // 00000000A138: 6838383E
	v_lshrrev_b32_e32 v29, 4, v0                               // 00000000A13C: 203A0084
	v_lshlrev_b32_e32 v29, 2, v29                              // 00000000A140: 243A3A82
	v_add_i32 v29, 1, v29                                      // 00000000A144: D29C001D 00023A81
	v_add_i32 v29, s59, v29                                    // 00000000A14C: D29C001D 00023A3B
	v_sub_i32 v29, v29, v28                                    // 00000000A154: D29D001D 0002391D
	v_cmp_ge_i32_e64 vcc, v29, s100                            // 00000000A15C: D0C6006A 0000C91D
	v_sub_i32 v29, 0, v29                                      // 00000000A164: D29D001D 00023A80
	v_cndmask_b32_e32 v49, v49, v151, vcc                      // 00000000A16C: 00632F31
	v_cmp_ge_i32_e64 vcc, v29, s99                             // 00000000A170: D0C6006A 0000C71D
	s_nop 1                                                    // 00000000A178: BF800001
	v_cndmask_b32_e32 v49, v49, v151, vcc                      // 00000000A17C: 00632F31
	v_and_b32_e32 v28, 15, v0                                  // 00000000A180: 2638008F
	v_add_u32_e32 v28, s62, v28                                // 00000000A184: 6838383E
	v_lshrrev_b32_e32 v29, 4, v0                               // 00000000A188: 203A0084
	v_lshlrev_b32_e32 v29, 2, v29                              // 00000000A18C: 243A3A82
	v_add_i32 v29, 2, v29                                      // 00000000A190: D29C001D 00023A82
	v_add_i32 v29, s59, v29                                    // 00000000A198: D29C001D 00023A3B
	v_sub_i32 v29, v29, v28                                    // 00000000A1A0: D29D001D 0002391D
	v_cmp_ge_i32_e64 vcc, v29, s100                            // 00000000A1A8: D0C6006A 0000C91D
	v_sub_i32 v29, 0, v29                                      // 00000000A1B0: D29D001D 00023A80
	v_cndmask_b32_e32 v50, v50, v151, vcc                      // 00000000A1B8: 00652F32
	v_cmp_ge_i32_e64 vcc, v29, s99                             // 00000000A1BC: D0C6006A 0000C71D
	s_nop 1                                                    // 00000000A1C4: BF800001
	v_cndmask_b32_e32 v50, v50, v151, vcc                      // 00000000A1C8: 00652F32
	v_and_b32_e32 v28, 15, v0                                  // 00000000A1CC: 2638008F
	v_add_u32_e32 v28, s62, v28                                // 00000000A1D0: 6838383E
	v_lshrrev_b32_e32 v29, 4, v0                               // 00000000A1D4: 203A0084
	v_lshlrev_b32_e32 v29, 2, v29                              // 00000000A1D8: 243A3A82
	v_add_i32 v29, 3, v29                                      // 00000000A1DC: D29C001D 00023A83
	v_add_i32 v29, s59, v29                                    // 00000000A1E4: D29C001D 00023A3B
	v_sub_i32 v29, v29, v28                                    // 00000000A1EC: D29D001D 0002391D
	v_cmp_ge_i32_e64 vcc, v29, s100                            // 00000000A1F4: D0C6006A 0000C91D
	v_sub_i32 v29, 0, v29                                      // 00000000A1FC: D29D001D 00023A80
	v_cndmask_b32_e32 v51, v51, v151, vcc                      // 00000000A204: 00672F33
	v_cmp_ge_i32_e64 vcc, v29, s99                             // 00000000A208: D0C6006A 0000C71D
	s_nop 1                                                    // 00000000A210: BF800001
	v_cndmask_b32_e32 v51, v51, v151, vcc                      // 00000000A214: 00672F33
	s_branch label_189E                                        // 00000000A218: BF82FF85

000000000000a21c <label_191A>:
	v_mov_b32_e32 v48, v151                                    // 00000000A21C: 7E600397
	v_mov_b32_e32 v49, v151                                    // 00000000A220: 7E620397
	v_mov_b32_e32 v50, v151                                    // 00000000A224: 7E640397
	v_mov_b32_e32 v51, v151                                    // 00000000A228: 7E660397
	s_branch label_189E                                        // 00000000A22C: BF82FF80

000000000000a230 <label_191F>:
	v_and_b32_e32 v28, 15, v0                                  // 00000000A230: 2638008F
	v_add_u32_e32 v28, s62, v28                                // 00000000A234: 6838383E
	v_lshrrev_b32_e32 v29, 4, v0                               // 00000000A238: 203A0084
	v_lshlrev_b32_e32 v29, 2, v29                              // 00000000A23C: 243A3A82
	v_add_i32 v29, 0, v29                                      // 00000000A240: D29C001D 00023A80
	v_add_i32 v29, s59, v29                                    // 00000000A248: D29C001D 00023A3B
	v_sub_i32 v29, v29, v28                                    // 00000000A250: D29D001D 0002391D
	v_cmp_ge_i32_e64 vcc, v29, s100                            // 00000000A258: D0C6006A 0000C91D
	v_sub_i32 v29, 0, v29                                      // 00000000A260: D29D001D 00023A80
	v_cndmask_b32_e32 v52, v52, v151, vcc                      // 00000000A268: 00692F34
	v_cmp_ge_i32_e64 vcc, v29, s99                             // 00000000A26C: D0C6006A 0000C71D
	s_nop 1                                                    // 00000000A274: BF800001
	v_cndmask_b32_e32 v52, v52, v151, vcc                      // 00000000A278: 00692F34
	v_and_b32_e32 v28, 15, v0                                  // 00000000A27C: 2638008F
	v_add_u32_e32 v28, s62, v28                                // 00000000A280: 6838383E
	v_lshrrev_b32_e32 v29, 4, v0                               // 00000000A284: 203A0084
	v_lshlrev_b32_e32 v29, 2, v29                              // 00000000A288: 243A3A82
	v_add_i32 v29, 1, v29                                      // 00000000A28C: D29C001D 00023A81
	v_add_i32 v29, s59, v29                                    // 00000000A294: D29C001D 00023A3B
	v_sub_i32 v29, v29, v28                                    // 00000000A29C: D29D001D 0002391D
	v_cmp_ge_i32_e64 vcc, v29, s100                            // 00000000A2A4: D0C6006A 0000C91D
	v_sub_i32 v29, 0, v29                                      // 00000000A2AC: D29D001D 00023A80
	v_cndmask_b32_e32 v53, v53, v151, vcc                      // 00000000A2B4: 006B2F35
	v_cmp_ge_i32_e64 vcc, v29, s99                             // 00000000A2B8: D0C6006A 0000C71D
	s_nop 1                                                    // 00000000A2C0: BF800001
	v_cndmask_b32_e32 v53, v53, v151, vcc                      // 00000000A2C4: 006B2F35
	v_and_b32_e32 v28, 15, v0                                  // 00000000A2C8: 2638008F
	v_add_u32_e32 v28, s62, v28                                // 00000000A2CC: 6838383E
	v_lshrrev_b32_e32 v29, 4, v0                               // 00000000A2D0: 203A0084
	v_lshlrev_b32_e32 v29, 2, v29                              // 00000000A2D4: 243A3A82
	v_add_i32 v29, 2, v29                                      // 00000000A2D8: D29C001D 00023A82
	v_add_i32 v29, s59, v29                                    // 00000000A2E0: D29C001D 00023A3B
	v_sub_i32 v29, v29, v28                                    // 00000000A2E8: D29D001D 0002391D
	v_cmp_ge_i32_e64 vcc, v29, s100                            // 00000000A2F0: D0C6006A 0000C91D
	v_sub_i32 v29, 0, v29                                      // 00000000A2F8: D29D001D 00023A80
	v_cndmask_b32_e32 v54, v54, v151, vcc                      // 00000000A300: 006D2F36
	v_cmp_ge_i32_e64 vcc, v29, s99                             // 00000000A304: D0C6006A 0000C71D
	s_nop 1                                                    // 00000000A30C: BF800001
	v_cndmask_b32_e32 v54, v54, v151, vcc                      // 00000000A310: 006D2F36
	v_and_b32_e32 v28, 15, v0                                  // 00000000A314: 2638008F
	v_add_u32_e32 v28, s62, v28                                // 00000000A318: 6838383E
	v_lshrrev_b32_e32 v29, 4, v0                               // 00000000A31C: 203A0084
	v_lshlrev_b32_e32 v29, 2, v29                              // 00000000A320: 243A3A82
	v_add_i32 v29, 3, v29                                      // 00000000A324: D29C001D 00023A83
	v_add_i32 v29, s59, v29                                    // 00000000A32C: D29C001D 00023A3B
	v_sub_i32 v29, v29, v28                                    // 00000000A334: D29D001D 0002391D
	v_cmp_ge_i32_e64 vcc, v29, s100                            // 00000000A33C: D0C6006A 0000C91D
	v_sub_i32 v29, 0, v29                                      // 00000000A344: D29D001D 00023A80
	v_cndmask_b32_e32 v55, v55, v151, vcc                      // 00000000A34C: 006F2F37
	v_cmp_ge_i32_e64 vcc, v29, s99                             // 00000000A350: D0C6006A 0000C71D
	s_nop 1                                                    // 00000000A358: BF800001
	v_cndmask_b32_e32 v55, v55, v151, vcc                      // 00000000A35C: 006F2F37
	s_branch label_18B5                                        // 00000000A360: BF82FF4A

000000000000a364 <label_196C>:
	v_mov_b32_e32 v52, v151                                    // 00000000A364: 7E680397
	v_mov_b32_e32 v53, v151                                    // 00000000A368: 7E6A0397
	v_mov_b32_e32 v54, v151                                    // 00000000A36C: 7E6C0397
	v_mov_b32_e32 v55, v151                                    // 00000000A370: 7E6E0397
	s_branch label_18B5                                        // 00000000A374: BF82FF45

000000000000a378 <label_1971>:
	v_and_b32_e32 v28, 15, v0                                  // 00000000A378: 2638008F
	v_add_u32_e32 v28, s62, v28                                // 00000000A37C: 6838383E
	v_lshrrev_b32_e32 v29, 4, v0                               // 00000000A380: 203A0084
	v_lshlrev_b32_e32 v29, 2, v29                              // 00000000A384: 243A3A82
	v_add_i32 v29, 0, v29                                      // 00000000A388: D29C001D 00023A80
	v_add_i32 v29, s59, v29                                    // 00000000A390: D29C001D 00023A3B
	v_sub_i32 v29, v29, v28                                    // 00000000A398: D29D001D 0002391D
	v_cmp_ge_i32_e64 vcc, v29, s100                            // 00000000A3A0: D0C6006A 0000C91D
	v_sub_i32 v29, 0, v29                                      // 00000000A3A8: D29D001D 00023A80
	v_cndmask_b32_e32 v56, v56, v151, vcc                      // 00000000A3B0: 00712F38
	v_cmp_ge_i32_e64 vcc, v29, s99                             // 00000000A3B4: D0C6006A 0000C71D
	s_nop 1                                                    // 00000000A3BC: BF800001
	v_cndmask_b32_e32 v56, v56, v151, vcc                      // 00000000A3C0: 00712F38
	v_and_b32_e32 v28, 15, v0                                  // 00000000A3C4: 2638008F
	v_add_u32_e32 v28, s62, v28                                // 00000000A3C8: 6838383E
	v_lshrrev_b32_e32 v29, 4, v0                               // 00000000A3CC: 203A0084
	v_lshlrev_b32_e32 v29, 2, v29                              // 00000000A3D0: 243A3A82
	v_add_i32 v29, 1, v29                                      // 00000000A3D4: D29C001D 00023A81
	v_add_i32 v29, s59, v29                                    // 00000000A3DC: D29C001D 00023A3B
	v_sub_i32 v29, v29, v28                                    // 00000000A3E4: D29D001D 0002391D
	v_cmp_ge_i32_e64 vcc, v29, s100                            // 00000000A3EC: D0C6006A 0000C91D
	v_sub_i32 v29, 0, v29                                      // 00000000A3F4: D29D001D 00023A80
	v_cndmask_b32_e32 v57, v57, v151, vcc                      // 00000000A3FC: 00732F39
	v_cmp_ge_i32_e64 vcc, v29, s99                             // 00000000A400: D0C6006A 0000C71D
	s_nop 1                                                    // 00000000A408: BF800001
	v_cndmask_b32_e32 v57, v57, v151, vcc                      // 00000000A40C: 00732F39
	v_and_b32_e32 v28, 15, v0                                  // 00000000A410: 2638008F
	v_add_u32_e32 v28, s62, v28                                // 00000000A414: 6838383E
	v_lshrrev_b32_e32 v29, 4, v0                               // 00000000A418: 203A0084
	v_lshlrev_b32_e32 v29, 2, v29                              // 00000000A41C: 243A3A82
	v_add_i32 v29, 2, v29                                      // 00000000A420: D29C001D 00023A82
	v_add_i32 v29, s59, v29                                    // 00000000A428: D29C001D 00023A3B
	v_sub_i32 v29, v29, v28                                    // 00000000A430: D29D001D 0002391D
	v_cmp_ge_i32_e64 vcc, v29, s100                            // 00000000A438: D0C6006A 0000C91D
	v_sub_i32 v29, 0, v29                                      // 00000000A440: D29D001D 00023A80
	v_cndmask_b32_e32 v58, v58, v151, vcc                      // 00000000A448: 00752F3A
	v_cmp_ge_i32_e64 vcc, v29, s99                             // 00000000A44C: D0C6006A 0000C71D
	s_nop 1                                                    // 00000000A454: BF800001
	v_cndmask_b32_e32 v58, v58, v151, vcc                      // 00000000A458: 00752F3A
	v_and_b32_e32 v28, 15, v0                                  // 00000000A45C: 2638008F
	v_add_u32_e32 v28, s62, v28                                // 00000000A460: 6838383E
	v_lshrrev_b32_e32 v29, 4, v0                               // 00000000A464: 203A0084
	v_lshlrev_b32_e32 v29, 2, v29                              // 00000000A468: 243A3A82
	v_add_i32 v29, 3, v29                                      // 00000000A46C: D29C001D 00023A83
	v_add_i32 v29, s59, v29                                    // 00000000A474: D29C001D 00023A3B
	v_sub_i32 v29, v29, v28                                    // 00000000A47C: D29D001D 0002391D
	v_cmp_ge_i32_e64 vcc, v29, s100                            // 00000000A484: D0C6006A 0000C91D
	v_sub_i32 v29, 0, v29                                      // 00000000A48C: D29D001D 00023A80
	v_cndmask_b32_e32 v59, v59, v151, vcc                      // 00000000A494: 00772F3B
	v_cmp_ge_i32_e64 vcc, v29, s99                             // 00000000A498: D0C6006A 0000C71D
	s_nop 1                                                    // 00000000A4A0: BF800001
	v_cndmask_b32_e32 v59, v59, v151, vcc                      // 00000000A4A4: 00772F3B
	s_branch label_19C3                                        // 00000000A4A8: BF820005

000000000000a4ac <label_19BE>:
	v_mov_b32_e32 v56, v151                                    // 00000000A4AC: 7E700397
	v_mov_b32_e32 v57, v151                                    // 00000000A4B0: 7E720397
	v_mov_b32_e32 v58, v151                                    // 00000000A4B4: 7E740397
	v_mov_b32_e32 v59, v151                                    // 00000000A4B8: 7E760397
	s_branch label_19C3                                        // 00000000A4BC: BF820000

000000000000a4c0 <label_19C3>:
	s_cmp_lt_i32 s94, 0xc0                                     // 00000000A4C0: BF04FF5E 000000C0
	s_cbranch_scc0 label_1A18                                  // 00000000A4C8: BF84004D
	s_cmp_le_i32 s94, 64                                       // 00000000A4CC: BF05C05E
	s_cbranch_scc1 label_19CF                                  // 00000000A4D0: BF850007
	s_cmp_le_i32 s94, 0x80                                     // 00000000A4D4: BF05FF5E 00000080
	s_cbranch_scc1 label_19E7                                  // 00000000A4DC: BF850017
	s_cmp_lt_i32 s94, 0xc0                                     // 00000000A4E0: BF04FF5E 000000C0
	s_cbranch_scc1 label_19FF                                  // 00000000A4E8: BF85002C
	s_branch label_1A18                                        // 00000000A4EC: BF820044

000000000000a4f0 <label_19CF>:
	s_mov_b32 s60, 0                                           // 00000000A4F0: BEBC0080
	v_and_b32_e32 v28, 15, v0                                  // 00000000A4F4: 2638008F
	v_add_u32_e64 v28, v28, s60                                // 00000000A4F8: D134001C 0000791C
	v_mul_i32_i24_e64 v29, s46, 16                             // 00000000A500: D106001D 0001202E
	v_add_u32_e32 v28, v28, v29                                // 00000000A508: 68383B1C
	v_cmp_lt_u32_e64 s[60:61], v28, s94                        // 00000000A50C: D0C9003C 0000BD1C
	s_nop 1                                                    // 00000000A514: BF800001
	v_cndmask_b32_e64 v48, v151, v48, s[60:61]                 // 00000000A518: D1000030 00F26197
	v_cndmask_b32_e64 v49, v151, v49, s[60:61]                 // 00000000A520: D1000031 00F26397
	v_cndmask_b32_e64 v50, v151, v50, s[60:61]                 // 00000000A528: D1000032 00F26597
	v_cndmask_b32_e64 v51, v151, v51, s[60:61]                 // 00000000A530: D1000033 00F26797
	s_branch label_19FA                                        // 00000000A538: BF820013

000000000000a53c <label_19E7>:
	s_mov_b32 s60, 64                                          // 00000000A53C: BEBC00C0
	v_and_b32_e32 v28, 15, v0                                  // 00000000A540: 2638008F
	v_add_u32_e64 v28, v28, s60                                // 00000000A544: D134001C 0000791C
	v_mul_i32_i24_e64 v29, s46, 16                             // 00000000A54C: D106001D 0001202E
	v_add_u32_e32 v28, v28, v29                                // 00000000A554: 68383B1C
	v_cmp_lt_u32_e64 s[60:61], v28, s94                        // 00000000A558: D0C9003C 0000BD1C
	s_nop 1                                                    // 00000000A560: BF800001
	v_cndmask_b32_e64 v52, v151, v52, s[60:61]                 // 00000000A564: D1000034 00F26997
	v_cndmask_b32_e64 v53, v151, v53, s[60:61]                 // 00000000A56C: D1000035 00F26B97
	v_cndmask_b32_e64 v54, v151, v54, s[60:61]                 // 00000000A574: D1000036 00F26D97
	v_cndmask_b32_e64 v55, v151, v55, s[60:61]                 // 00000000A57C: D1000037 00F26F97
	s_branch label_1A13                                        // 00000000A584: BF820019

000000000000a588 <label_19FA>:
	v_mov_b32_e32 v52, v151                                    // 00000000A588: 7E680397
	v_mov_b32_e32 v53, v151                                    // 00000000A58C: 7E6A0397
	v_mov_b32_e32 v54, v151                                    // 00000000A590: 7E6C0397
	v_mov_b32_e32 v55, v151                                    // 00000000A594: 7E6E0397
	s_branch label_1A13                                        // 00000000A598: BF820014

000000000000a59c <label_19FF>:
	s_mov_b32 s60, 0x80                                        // 00000000A59C: BEBC00FF 00000080
	v_and_b32_e32 v28, 15, v0                                  // 00000000A5A4: 2638008F
	v_add_u32_e64 v28, v28, s60                                // 00000000A5A8: D134001C 0000791C
	v_mul_i32_i24_e64 v29, s46, 16                             // 00000000A5B0: D106001D 0001202E
	v_add_u32_e32 v28, v28, v29                                // 00000000A5B8: 68383B1C
	v_cmp_lt_u32_e64 s[60:61], v28, s94                        // 00000000A5BC: D0C9003C 0000BD1C
	s_nop 1                                                    // 00000000A5C4: BF800001
	v_cndmask_b32_e64 v56, v151, v56, s[60:61]                 // 00000000A5C8: D1000038 00F27197
	v_cndmask_b32_e64 v57, v151, v57, s[60:61]                 // 00000000A5D0: D1000039 00F27397
	v_cndmask_b32_e64 v58, v151, v58, s[60:61]                 // 00000000A5D8: D100003A 00F27597
	v_cndmask_b32_e64 v59, v151, v59, s[60:61]                 // 00000000A5E0: D100003B 00F27797
	s_branch label_1A18                                        // 00000000A5E8: BF820005

000000000000a5ec <label_1A13>:
	v_mov_b32_e32 v56, v151                                    // 00000000A5EC: 7E700397
	v_mov_b32_e32 v57, v151                                    // 00000000A5F0: 7E720397
	v_mov_b32_e32 v58, v151                                    // 00000000A5F4: 7E740397
	v_mov_b32_e32 v59, v151                                    // 00000000A5F8: 7E760397
	s_branch label_1A18                                        // 00000000A5FC: BF820000

000000000000a600 <label_1A18>:
	s_waitcnt lgkmcnt(8)                                       // 00000000A600: BF8CC87F
	s_barrier                                                  // 00000000A604: BF8A0000
	v_mfma_f32_16x16x16_bf16 v[72:75], v[92:93], a[96:97], 0   // 00000000A608: D3E10048 1202C15C
	v_fma_f32 v48, v48, s57, -v124                             // 00000000A610: D1CB0030 85F07330
	v_fma_f32 v49, v49, s57, -v125                             // 00000000A618: D1CB0031 85F47331
	v_fma_f32 v50, v50, s57, -v126                             // 00000000A620: D1CB0032 85F87332
	v_mfma_f32_16x16x16_bf16 v[72:75], v[94:95], a[98:99], v[72:75]// 00000000A628: D3E10048 1522C55E
	ds_read_b128 a[144:147], v12 offset:4352                   // 00000000A630: DBFE1100 9000000C
	ds_read_b128 a[148:151], v12 offset:4864                   // 00000000A638: DBFE1300 9400000C
	v_mfma_f32_16x16x16_bf16 v[72:75], v[96:97], a[100:101], v[72:75]// 00000000A640: D3E10048 1522C960
	v_fma_f32 v51, v51, s57, -v127                             // 00000000A648: D1CB0033 85FC7333
	v_fma_f32 v52, v52, s57, -v124                             // 00000000A650: D1CB0034 85F07334
	v_fma_f32 v53, v53, s57, -v125                             // 00000000A658: D1CB0035 85F47335
	v_mfma_f32_16x16x16_bf16 v[72:75], v[98:99], a[102:103], v[72:75]// 00000000A660: D3E10048 1522CD62
	v_fma_f32 v54, v54, s57, -v126                             // 00000000A668: D1CB0036 85F87336
	v_fma_f32 v55, v55, s57, -v127                             // 00000000A670: D1CB0037 85FC7337
	v_fma_f32 v56, v56, s57, -v124                             // 00000000A678: D1CB0038 85F07338
	v_mfma_f32_16x16x16_bf16 v[72:75], v[100:101], a[104:105], v[72:75]// 00000000A680: D3E10048 1522D164
	v_fma_f32 v57, v57, s57, -v125                             // 00000000A688: D1CB0039 85F47339
	v_fma_f32 v58, v58, s57, -v126                             // 00000000A690: D1CB003A 85F8733A
	v_fma_f32 v59, v59, s57, -v127                             // 00000000A698: D1CB003B 85FC733B
	v_mfma_f32_16x16x16_bf16 v[72:75], v[102:103], a[106:107], v[72:75]// 00000000A6A0: D3E10048 1522D566
	ds_read_b128 a[152:155], v12 offset:6528                   // 00000000A6A8: DBFE1980 9800000C
	ds_read_b128 a[156:159], v12 offset:7040                   // 00000000A6B0: DBFE1B80 9C00000C
	v_mfma_f32_16x16x16_bf16 v[72:75], v[104:105], a[108:109], v[72:75]// 00000000A6B8: D3E10048 1522D968
	v_exp_f32_e32 v48, v48                                     // 00000000A6C0: 7E604130
	v_mfma_f32_16x16x16_bf16 v[72:75], v[106:107], a[110:111], v[72:75]// 00000000A6C4: D3E10048 1522DD6A
	v_exp_f32_e32 v49, v49                                     // 00000000A6CC: 7E624131
	v_mfma_f32_16x16x16_bf16 v[76:79], v[92:93], a[112:113], 0 // 00000000A6D0: D3E1004C 1202E15C
	v_exp_f32_e32 v50, v50                                     // 00000000A6D8: 7E644132
	v_mfma_f32_16x16x16_bf16 v[76:79], v[94:95], a[114:115], v[76:79]// 00000000A6DC: D3E1004C 1532E55E
	ds_read_b64 v[136:137], v19 offset:24320                   // 00000000A6E4: D8EC5F00 88000013
	ds_read_b64 v[138:139], v19 offset:26368                   // 00000000A6EC: D8EC6700 8A000013
	v_mfma_f32_16x16x16_bf16 v[76:79], v[96:97], a[116:117], v[76:79]// 00000000A6F4: D3E1004C 1532E960
	v_exp_f32_e32 v51, v51                                     // 00000000A6FC: 7E664133
	v_mfma_f32_16x16x16_bf16 v[76:79], v[98:99], a[118:119], v[76:79]// 00000000A700: D3E1004C 1532ED62
	ds_read_b64 v[140:141], v19 offset:28416                   // 00000000A708: D8EC6F00 8C000013
	ds_read_b64 v[142:143], v19 offset:30464                   // 00000000A710: D8EC7700 8E000013
	v_mfma_f32_16x16x16_bf16 v[76:79], v[100:101], a[120:121], v[76:79]// 00000000A718: D3E1004C 1532F164
	v_exp_f32_e32 v52, v52                                     // 00000000A720: 7E684134
	v_mfma_f32_16x16x16_bf16 v[76:79], v[102:103], a[122:123], v[76:79]// 00000000A724: D3E1004C 1532F566
	v_exp_f32_e32 v53, v53                                     // 00000000A72C: 7E6A4135
	v_mfma_f32_16x16x16_bf16 v[76:79], v[104:105], a[124:125], v[76:79]// 00000000A730: D3E1004C 1532F968
	v_exp_f32_e32 v54, v54                                     // 00000000A738: 7E6C4136
	v_mfma_f32_16x16x16_bf16 v[76:79], v[106:107], a[126:127], v[76:79]// 00000000A73C: D3E1004C 1532FD6A
	v_exp_f32_e32 v55, v55                                     // 00000000A744: 7E6E4137
	v_mfma_f32_16x16x16_bf16 v[80:83], v[92:93], a[128:129], 0 // 00000000A748: D3E10050 1203015C
	v_exp_f32_e32 v56, v56                                     // 00000000A750: 7E704138
	v_mfma_f32_16x16x16_bf16 v[80:83], v[94:95], a[130:131], v[80:83]// 00000000A754: D3E10050 1543055E
	v_exp_f32_e32 v57, v57                                     // 00000000A75C: 7E724139
	v_mfma_f32_16x16x16_bf16 v[80:83], v[96:97], a[132:133], v[80:83]// 00000000A760: D3E10050 15430960
	v_exp_f32_e32 v58, v58                                     // 00000000A768: 7E74413A
	v_mfma_f32_16x16x16_bf16 v[80:83], v[98:99], a[134:135], v[80:83]// 00000000A76C: D3E10050 15430D62
	v_exp_f32_e32 v59, v59                                     // 00000000A774: 7E76413B
	v_mfma_f32_16x16x16_bf16 v[80:83], v[100:101], a[136:137], v[80:83]// 00000000A778: D3E10050 15431164
	v_cmp_u_f32_e64 s[74:75], v48, v48                         // 00000000A780: D048004A 00026130
	v_bfe_u32 v248, v48, 16, 1                                 // 00000000A788: D1C800F8 02052130
	v_add3_u32 v248, v48, v248, v251                           // 00000000A790: D1FF00F8 07EFF130
	v_cndmask_b32_e64 v28, v248, v250, s[74:75]                // 00000000A798: D100001C 012BF5F8
	v_lshrrev_b32_e32 v28, 16, v28                             // 00000000A7A0: 20383890
	v_cmp_u_f32_e64 s[74:75], v49, v49                         // 00000000A7A4: D048004A 00026331
	v_bfe_u32 v248, v49, 16, 1                                 // 00000000A7AC: D1C800F8 02052131
	v_add3_u32 v248, v49, v248, v251                           // 00000000A7B4: D1FF00F8 07EFF131
	v_cndmask_b32_e64 v29, v248, v250, s[74:75]                // 00000000A7BC: D100001D 012BF5F8
	v_and_or_b32 v144, v29, v249, v28                          // 00000000A7C4: D2010090 0473F31D
	v_cmp_u_f32_e64 s[74:75], v50, v50                         // 00000000A7CC: D048004A 00026532
	v_bfe_u32 v248, v50, 16, 1                                 // 00000000A7D4: D1C800F8 02052132
	v_add3_u32 v248, v50, v248, v251                           // 00000000A7DC: D1FF00F8 07EFF132
	v_cndmask_b32_e64 v28, v248, v250, s[74:75]                // 00000000A7E4: D100001C 012BF5F8
	v_lshrrev_b32_e32 v28, 16, v28                             // 00000000A7EC: 20383890
	v_cmp_u_f32_e64 s[74:75], v51, v51                         // 00000000A7F0: D048004A 00026733
	v_bfe_u32 v248, v51, 16, 1                                 // 00000000A7F8: D1C800F8 02052133
	v_add3_u32 v248, v51, v248, v251                           // 00000000A800: D1FF00F8 07EFF133
	v_cndmask_b32_e64 v29, v248, v250, s[74:75]                // 00000000A808: D100001D 012BF5F8
	v_and_or_b32 v145, v29, v249, v28                          // 00000000A810: D2010091 0473F31D
	v_cmp_u_f32_e64 s[74:75], v52, v52                         // 00000000A818: D048004A 00026934
	v_bfe_u32 v248, v52, 16, 1                                 // 00000000A820: D1C800F8 02052134
	v_add3_u32 v248, v52, v248, v251                           // 00000000A828: D1FF00F8 07EFF134
	v_cndmask_b32_e64 v28, v248, v250, s[74:75]                // 00000000A830: D100001C 012BF5F8
	v_lshrrev_b32_e32 v28, 16, v28                             // 00000000A838: 20383890
	v_cmp_u_f32_e64 s[74:75], v53, v53                         // 00000000A83C: D048004A 00026B35
	v_bfe_u32 v248, v53, 16, 1                                 // 00000000A844: D1C800F8 02052135
	v_add3_u32 v248, v53, v248, v251                           // 00000000A84C: D1FF00F8 07EFF135
	v_cndmask_b32_e64 v29, v248, v250, s[74:75]                // 00000000A854: D100001D 012BF5F8
	v_and_or_b32 v146, v29, v249, v28                          // 00000000A85C: D2010092 0473F31D
	v_mfma_f32_16x16x16_bf16 v[80:83], v[102:103], a[138:139], v[80:83]// 00000000A864: D3E10050 15431566
	v_cmp_u_f32_e64 s[74:75], v54, v54                         // 00000000A86C: D048004A 00026D36
	v_bfe_u32 v248, v54, 16, 1                                 // 00000000A874: D1C800F8 02052136
	v_add3_u32 v248, v54, v248, v251                           // 00000000A87C: D1FF00F8 07EFF136
	v_cndmask_b32_e64 v28, v248, v250, s[74:75]                // 00000000A884: D100001C 012BF5F8
	v_lshrrev_b32_e32 v28, 16, v28                             // 00000000A88C: 20383890
	v_cmp_u_f32_e64 s[74:75], v55, v55                         // 00000000A890: D048004A 00026F37
	v_bfe_u32 v248, v55, 16, 1                                 // 00000000A898: D1C800F8 02052137
	v_add3_u32 v248, v55, v248, v251                           // 00000000A8A0: D1FF00F8 07EFF137
	v_cndmask_b32_e64 v29, v248, v250, s[74:75]                // 00000000A8A8: D100001D 012BF5F8
	v_and_or_b32 v147, v29, v249, v28                          // 00000000A8B0: D2010093 0473F31D
	v_cmp_u_f32_e64 s[74:75], v56, v56                         // 00000000A8B8: D048004A 00027138
	v_bfe_u32 v248, v56, 16, 1                                 // 00000000A8C0: D1C800F8 02052138
	v_add3_u32 v248, v56, v248, v251                           // 00000000A8C8: D1FF00F8 07EFF138
	v_cndmask_b32_e64 v28, v248, v250, s[74:75]                // 00000000A8D0: D100001C 012BF5F8
	v_lshrrev_b32_e32 v28, 16, v28                             // 00000000A8D8: 20383890
	v_cmp_u_f32_e64 s[74:75], v57, v57                         // 00000000A8DC: D048004A 00027339
	v_bfe_u32 v248, v57, 16, 1                                 // 00000000A8E4: D1C800F8 02052139
	v_add3_u32 v248, v57, v248, v251                           // 00000000A8EC: D1FF00F8 07EFF139
	v_cndmask_b32_e64 v29, v248, v250, s[74:75]                // 00000000A8F4: D100001D 012BF5F8
	v_and_or_b32 v148, v29, v249, v28                          // 00000000A8FC: D2010094 0473F31D
	v_cmp_u_f32_e64 s[74:75], v58, v58                         // 00000000A904: D048004A 0002753A
	v_bfe_u32 v248, v58, 16, 1                                 // 00000000A90C: D1C800F8 0205213A
	v_add3_u32 v248, v58, v248, v251                           // 00000000A914: D1FF00F8 07EFF13A
	v_cndmask_b32_e64 v28, v248, v250, s[74:75]                // 00000000A91C: D100001C 012BF5F8
	v_lshrrev_b32_e32 v28, 16, v28                             // 00000000A924: 20383890
	v_cmp_u_f32_e64 s[74:75], v59, v59                         // 00000000A928: D048004A 0002773B
	v_bfe_u32 v248, v59, 16, 1                                 // 00000000A930: D1C800F8 0205213B
	v_add3_u32 v248, v59, v248, v251                           // 00000000A938: D1FF00F8 07EFF13B
	v_cndmask_b32_e64 v29, v248, v250, s[74:75]                // 00000000A940: D100001D 012BF5F8
	v_and_or_b32 v149, v29, v249, v28                          // 00000000A948: D2010095 0473F31D
	v_mfma_f32_16x16x16_bf16 v[80:83], v[104:105], a[140:141], v[80:83]// 00000000A950: D3E10050 15431968
	v_add_u32_e32 v7, s66, v7                                  // 00000000A958: 680E0E42
	v_add_u32_e32 v8, s66, v8                                  // 00000000A95C: 68101042
	v_mfma_f32_16x16x16_bf16 v[80:83], v[106:107], a[142:143], v[80:83]// 00000000A960: D3E10050 15431D6A
	s_waitcnt lgkmcnt(0)                                       // 00000000A968: BF8CC07F
	s_barrier                                                  // 00000000A96C: BF8A0000
	v_mfma_f32_16x16x16_bf16 v[152:155], v[108:109], v[144:145], v[152:155]// 00000000A970: D3E10098 0663216C
	v_subrev_f32_dpp v72, v150, v72 quad_perm:[0,0,0,0] row_mask:0xf bank_mask:0xf// 00000000A978: 069090FA FF000096
	v_subrev_f32_dpp v73, v150, v73 quad_perm:[1,1,1,1] row_mask:0xf bank_mask:0xf// 00000000A980: 069292FA FF005596
	v_subrev_f32_dpp v74, v150, v74 quad_perm:[2,2,2,2] row_mask:0xf bank_mask:0xf// 00000000A988: 069494FA FF00AA96
	v_mfma_f32_16x16x16_bf16 v[156:159], v[110:111], v[144:145], v[156:159]// 00000000A990: D3E1009C 0673216E
	v_subrev_f32_dpp v75, v150, v75 quad_perm:[3,3,3,3] row_mask:0xf bank_mask:0xf// 00000000A998: 069696FA FF00FF96
	v_subrev_f32_dpp v76, v150, v76 quad_perm:[0,0,0,0] row_mask:0xf bank_mask:0xf// 00000000A9A0: 069898FA FF000096
	v_subrev_f32_dpp v77, v150, v77 quad_perm:[1,1,1,1] row_mask:0xf bank_mask:0xf// 00000000A9A8: 069A9AFA FF005596
	v_mfma_f32_16x16x16_bf16 v[160:163], v[112:113], v[144:145], v[160:163]// 00000000A9B0: D3E100A0 06832170
	v_mul_f32_e32 v72, v48, v72                                // 00000000A9B8: 0A909130
	v_mul_f32_e32 v73, v49, v73                                // 00000000A9BC: 0A929331
	v_mul_f32_e32 v74, v50, v74                                // 00000000A9C0: 0A949532
	v_mfma_f32_16x16x16_bf16 v[164:167], v[114:115], v[144:145], v[164:167]// 00000000A9C4: D3E100A4 06932172
	v_mul_f32_e32 v75, v51, v75                                // 00000000A9CC: 0A969733
	v_mul_f32_e32 v76, v52, v76                                // 00000000A9D0: 0A989934
	v_mul_f32_e32 v77, v53, v77                                // 00000000A9D4: 0A9A9B35
	v_mfma_f32_16x16x16_bf16 v[168:171], v[116:117], v[144:145], v[168:171]// 00000000A9D8: D3E100A8 06A32174
	v_cmp_u_f32_e64 s[74:75], v72, v72                         // 00000000A9E0: D048004A 00029148
	v_bfe_u32 v248, v72, 16, 1                                 // 00000000A9E8: D1C800F8 02052148
	v_add3_u32 v248, v72, v248, v251                           // 00000000A9F0: D1FF00F8 07EFF148
	v_cndmask_b32_e64 v28, v248, v250, s[74:75]                // 00000000A9F8: D100001C 012BF5F8
	v_lshrrev_b32_e32 v28, 16, v28                             // 00000000AA00: 20383890
	v_cmp_u_f32_e64 s[74:75], v73, v73                         // 00000000AA04: D048004A 00029349
	v_bfe_u32 v248, v73, 16, 1                                 // 00000000AA0C: D1C800F8 02052149
	v_add3_u32 v248, v73, v248, v251                           // 00000000AA14: D1FF00F8 07EFF149
	v_cndmask_b32_e64 v29, v248, v250, s[74:75]                // 00000000AA1C: D100001D 012BF5F8
	v_and_or_b32 v72, v29, v249, v28                           // 00000000AA24: D2010048 0473F31D
	v_cmp_u_f32_e64 s[74:75], v74, v74                         // 00000000AA2C: D048004A 0002954A
	v_bfe_u32 v248, v74, 16, 1                                 // 00000000AA34: D1C800F8 0205214A
	v_add3_u32 v248, v74, v248, v251                           // 00000000AA3C: D1FF00F8 07EFF14A
	v_cndmask_b32_e64 v28, v248, v250, s[74:75]                // 00000000AA44: D100001C 012BF5F8
	v_lshrrev_b32_e32 v28, 16, v28                             // 00000000AA4C: 20383890
	v_cmp_u_f32_e64 s[74:75], v75, v75                         // 00000000AA50: D048004A 0002974B
	v_bfe_u32 v248, v75, 16, 1                                 // 00000000AA58: D1C800F8 0205214B
	v_add3_u32 v248, v75, v248, v251                           // 00000000AA60: D1FF00F8 07EFF14B
	v_cndmask_b32_e64 v29, v248, v250, s[74:75]                // 00000000AA68: D100001D 012BF5F8
	v_and_or_b32 v73, v29, v249, v28                           // 00000000AA70: D2010049 0473F31D
	v_cmp_u_f32_e64 s[74:75], v76, v76                         // 00000000AA78: D048004A 0002994C
	v_bfe_u32 v248, v76, 16, 1                                 // 00000000AA80: D1C800F8 0205214C
	v_add3_u32 v248, v76, v248, v251                           // 00000000AA88: D1FF00F8 07EFF14C
	v_cndmask_b32_e64 v28, v248, v250, s[74:75]                // 00000000AA90: D100001C 012BF5F8
	v_lshrrev_b32_e32 v28, 16, v28                             // 00000000AA98: 20383890
	v_cmp_u_f32_e64 s[74:75], v77, v77                         // 00000000AA9C: D048004A 00029B4D
	v_bfe_u32 v248, v77, 16, 1                                 // 00000000AAA4: D1C800F8 0205214D
	v_add3_u32 v248, v77, v248, v251                           // 00000000AAAC: D1FF00F8 07EFF14D
	v_cndmask_b32_e64 v29, v248, v250, s[74:75]                // 00000000AAB4: D100001D 012BF5F8
	v_and_or_b32 v74, v29, v249, v28                           // 00000000AABC: D201004A 0473F31D
	v_mfma_f32_16x16x16_bf16 v[172:175], v[118:119], v[144:145], v[172:175]// 00000000AAC4: D3E100AC 06B32176
	v_mov_b32_dpp v16, v72 quad_perm:[1,0,3,2] row_mask:0xf bank_mask:0xf// 00000000AACC: 7E2002FA FF00B148
	v_perm_b32 v48, v16, v72, v15                              // 00000000AAD4: D1ED0030 043E9110
	v_mov_b32_dpp v16, v73 quad_perm:[1,0,3,2] row_mask:0xf bank_mask:0xf// 00000000AADC: 7E2002FA FF00B149
	v_mfma_f32_16x16x16_bf16 v[176:179], v[120:121], v[144:145], v[176:179]// 00000000AAE4: D3E100B0 06C32178
	ds_write_b32 v18, v48 offset:17408                         // 00000000AAEC: D81A4400 00003012
	v_mfma_f32_16x16x16_bf16 v[180:183], v[122:123], v[144:145], v[180:183]// 00000000AAF4: D3E100B4 06D3217A
	v_perm_b32 v49, v16, v73, v15                              // 00000000AAFC: D1ED0031 043E9310
	v_mov_b32_dpp v16, v74 quad_perm:[1,0,3,2] row_mask:0xf bank_mask:0xf// 00000000AB04: 7E2002FA FF00B14A
	v_perm_b32 v50, v16, v74, v15                              // 00000000AB0C: D1ED0032 043E9510
	v_mfma_f32_16x16x16_bf16 v[184:187], v[108:109], v[146:147], v[184:187]// 00000000AB14: D3E100B8 06E3256C
	ds_write_b32 v18, v49 offset:17952                         // 00000000AB1C: D81A4620 00003112
	v_mfma_f32_16x16x16_bf16 v[188:191], v[110:111], v[146:147], v[188:191]// 00000000AB24: D3E100BC 06F3256E
	v_subrev_f32_dpp v78, v150, v78 quad_perm:[2,2,2,2] row_mask:0xf bank_mask:0xf// 00000000AB2C: 069C9CFA FF00AA96
	v_subrev_f32_dpp v79, v150, v79 quad_perm:[3,3,3,3] row_mask:0xf bank_mask:0xf// 00000000AB34: 069E9EFA FF00FF96
	v_subrev_f32_dpp v80, v150, v80 quad_perm:[0,0,0,0] row_mask:0xf bank_mask:0xf// 00000000AB3C: 06A0A0FA FF000096
	v_mfma_f32_16x16x16_bf16 v[192:195], v[112:113], v[146:147], v[192:195]// 00000000AB44: D3E100C0 07032570
	ds_write_b32 v18, v50 offset:19712                         // 00000000AB4C: D81A4D00 00003212
	v_mfma_f32_16x16x16_bf16 v[196:199], v[114:115], v[146:147], v[196:199]// 00000000AB54: D3E100C4 07132572
	v_subrev_f32_dpp v81, v150, v81 quad_perm:[1,1,1,1] row_mask:0xf bank_mask:0xf// 00000000AB5C: 06A2A2FA FF005596
	v_subrev_f32_dpp v82, v150, v82 quad_perm:[2,2,2,2] row_mask:0xf bank_mask:0xf// 00000000AB64: 06A4A4FA FF00AA96
	v_subrev_f32_dpp v83, v150, v83 quad_perm:[3,3,3,3] row_mask:0xf bank_mask:0xf// 00000000AB6C: 06A6A6FA FF00FF96
	v_mfma_f32_16x16x16_bf16 v[200:203], v[116:117], v[146:147], v[200:203]// 00000000AB74: D3E100C8 07232574
	v_mul_f32_e32 v78, v54, v78                                // 00000000AB7C: 0A9C9D36
	v_mul_f32_e32 v79, v55, v79                                // 00000000AB80: 0A9E9F37
	v_mul_f32_e32 v80, v56, v80                                // 00000000AB84: 0AA0A138
	v_mfma_f32_16x16x16_bf16 v[204:207], v[118:119], v[146:147], v[204:207]// 00000000AB88: D3E100CC 07332576
	v_mul_f32_e32 v81, v57, v81                                // 00000000AB90: 0AA2A339
	v_mul_f32_e32 v82, v58, v82                                // 00000000AB94: 0AA4A53A
	v_mul_f32_e32 v83, v59, v83                                // 00000000AB98: 0AA6A73B
	v_mfma_f32_16x16x16_bf16 v[208:211], v[120:121], v[146:147], v[208:211]// 00000000AB9C: D3E100D0 07432578
	v_cmp_u_f32_e64 s[74:75], v78, v78                         // 00000000ABA4: D048004A 00029D4E
	v_bfe_u32 v248, v78, 16, 1                                 // 00000000ABAC: D1C800F8 0205214E
	v_add3_u32 v248, v78, v248, v251                           // 00000000ABB4: D1FF00F8 07EFF14E
	v_cndmask_b32_e64 v28, v248, v250, s[74:75]                // 00000000ABBC: D100001C 012BF5F8
	v_lshrrev_b32_e32 v28, 16, v28                             // 00000000ABC4: 20383890
	v_cmp_u_f32_e64 s[74:75], v79, v79                         // 00000000ABC8: D048004A 00029F4F
	v_bfe_u32 v248, v79, 16, 1                                 // 00000000ABD0: D1C800F8 0205214F
	v_add3_u32 v248, v79, v248, v251                           // 00000000ABD8: D1FF00F8 07EFF14F
	v_cndmask_b32_e64 v29, v248, v250, s[74:75]                // 00000000ABE0: D100001D 012BF5F8
	v_and_or_b32 v75, v29, v249, v28                           // 00000000ABE8: D201004B 0473F31D
	v_cmp_u_f32_e64 s[74:75], v80, v80                         // 00000000ABF0: D048004A 0002A150
	v_bfe_u32 v248, v80, 16, 1                                 // 00000000ABF8: D1C800F8 02052150
	v_add3_u32 v248, v80, v248, v251                           // 00000000AC00: D1FF00F8 07EFF150
	v_cndmask_b32_e64 v28, v248, v250, s[74:75]                // 00000000AC08: D100001C 012BF5F8
	v_lshrrev_b32_e32 v28, 16, v28                             // 00000000AC10: 20383890
	v_cmp_u_f32_e64 s[74:75], v81, v81                         // 00000000AC14: D048004A 0002A351
	v_bfe_u32 v248, v81, 16, 1                                 // 00000000AC1C: D1C800F8 02052151
	v_add3_u32 v248, v81, v248, v251                           // 00000000AC24: D1FF00F8 07EFF151
	v_cndmask_b32_e64 v29, v248, v250, s[74:75]                // 00000000AC2C: D100001D 012BF5F8
	v_and_or_b32 v76, v29, v249, v28                           // 00000000AC34: D201004C 0473F31D
	v_cmp_u_f32_e64 s[74:75], v82, v82                         // 00000000AC3C: D048004A 0002A552
	v_bfe_u32 v248, v82, 16, 1                                 // 00000000AC44: D1C800F8 02052152
	v_add3_u32 v248, v82, v248, v251                           // 00000000AC4C: D1FF00F8 07EFF152
	v_cndmask_b32_e64 v28, v248, v250, s[74:75]                // 00000000AC54: D100001C 012BF5F8
	v_lshrrev_b32_e32 v28, 16, v28                             // 00000000AC5C: 20383890
	v_cmp_u_f32_e64 s[74:75], v83, v83                         // 00000000AC60: D048004A 0002A753
	v_bfe_u32 v248, v83, 16, 1                                 // 00000000AC68: D1C800F8 02052153
	v_add3_u32 v248, v83, v248, v251                           // 00000000AC70: D1FF00F8 07EFF153
	v_cndmask_b32_e64 v29, v248, v250, s[74:75]                // 00000000AC78: D100001D 012BF5F8
	v_and_or_b32 v77, v29, v249, v28                           // 00000000AC80: D201004D 0473F31D
	v_mfma_f32_16x16x16_bf16 v[212:215], v[122:123], v[146:147], v[212:215]// 00000000AC88: D3E100D4 0753257A
	v_mov_b32_dpp v16, v75 quad_perm:[1,0,3,2] row_mask:0xf bank_mask:0xf// 00000000AC90: 7E2002FA FF00B14B
	v_perm_b32 v51, v16, v75, v15                              // 00000000AC98: D1ED0033 043E9710
	v_mov_b32_dpp v16, v76 quad_perm:[1,0,3,2] row_mask:0xf bank_mask:0xf// 00000000ACA0: 7E2002FA FF00B14C
	v_mfma_f32_16x16x16_bf16 v[216:219], v[108:109], v[148:149], v[216:219]// 00000000ACA8: D3E100D8 0763296C
	ds_write_b32 v18, v51 offset:20256                         // 00000000ACB0: D81A4F20 00003312
	v_mfma_f32_16x16x16_bf16 v[220:223], v[110:111], v[148:149], v[220:223]// 00000000ACB8: D3E100DC 0773296E
	v_perm_b32 v52, v16, v76, v15                              // 00000000ACC0: D1ED0034 043E9910
	v_mov_b32_dpp v16, v77 quad_perm:[1,0,3,2] row_mask:0xf bank_mask:0xf// 00000000ACC8: 7E2002FA FF00B14D
	v_perm_b32 v53, v16, v77, v15                              // 00000000ACD0: D1ED0035 043E9B10
	v_mfma_f32_16x16x16_bf16 v[224:227], v[112:113], v[148:149], v[224:227]// 00000000ACD8: D3E100E0 07832970
	ds_write_b32 v18, v52 offset:22016                         // 00000000ACE0: D81A5600 00003412
	ds_write_b32 v18, v53 offset:22560                         // 00000000ACE8: D81A5820 00003512
	v_mfma_f32_16x16x16_bf16 v[228:231], v[114:115], v[148:149], v[228:231]// 00000000ACF0: D3E100E4 07932972
	v_mfma_f32_16x16x16_bf16 v[232:235], v[116:117], v[148:149], v[232:235]// 00000000ACF8: D3E100E8 07A32974
	ds_write_b32 v13, v84 offset:4352                          // 00000000AD00: D81A1100 0000540D
	ds_write_b32 v13, v85 offset:5408                          // 00000000AD08: D81A1520 0000550D
	v_mfma_f32_16x16x16_bf16 v[236:239], v[118:119], v[148:149], v[236:239]// 00000000AD10: D3E100EC 07B32976
	v_mfma_f32_16x16x16_bf16 v[240:243], v[120:121], v[148:149], v[240:243]// 00000000AD18: D3E100F0 07C32978
	ds_write_b32 v13, v86 offset:4480                          // 00000000AD20: D81A1180 0000560D
	ds_write_b32 v13, v87 offset:5536                          // 00000000AD28: D81A15A0 0000570D
	v_mfma_f32_16x16x16_bf16 v[244:247], v[122:123], v[148:149], v[244:247]// 00000000AD30: D3E100F4 07D3297A
	s_nop 0                                                    // 00000000AD38: BF800000
	s_nop 0                                                    // 00000000AD3C: BF800000
	s_nop 0                                                    // 00000000AD40: BF800000
	s_barrier                                                  // 00000000AD44: BF8A0000
	v_mfma_f32_16x16x16_bf16 a[160:163], a[144:145], v[72:73], a[160:163]// 00000000AD48: D3E180A0 0E829190
	ds_read_b32 v124, v21 offset:50688                         // 00000000AD50: D86CC600 7C000015
	ds_read_b32 v150, v21 offset:50944                         // 00000000AD58: D86CC700 96000015
	v_mfma_f32_16x16x16_bf16 a[164:167], a[146:147], v[72:73], a[164:167]// 00000000AD60: D3E180A4 0E929192
	buffer_atomic_add_f32 v136, v7, s[32:35], 0 offen          // 00000000AD68: E1341000 80088807
	v_mfma_f32_16x16x16_bf16 a[168:171], a[148:149], v[72:73], a[168:171]// 00000000AD70: D3E180A8 0EA29194
	s_waitcnt lgkmcnt(6)                                       // 00000000AD78: BF8CC67F
	s_barrier                                                  // 00000000AD7C: BF8A0000
	v_mfma_f32_16x16x16_bf16 a[172:175], a[150:151], v[72:73], a[172:175]// 00000000AD80: D3E180AC 0EB29196
	v_mfma_f32_16x16x16_bf16 a[176:179], a[152:153], v[72:73], a[176:179]// 00000000AD88: D3E180B0 0EC29198
	ds_read_b128 v[48:51], v17 offset:17408                    // 00000000AD90: D9FE4400 30000011
	v_mfma_f32_16x16x16_bf16 a[180:183], a[154:155], v[72:73], a[180:183]// 00000000AD98: D3E180B4 0ED2919A
	v_mfma_f32_16x16x16_bf16 a[184:187], a[156:157], v[72:73], a[184:187]// 00000000ADA0: D3E180B8 0EE2919C
	ds_read_b128 v[52:55], v17 offset:18560                    // 00000000ADA8: D9FE4880 34000011
	v_mfma_f32_16x16x16_bf16 a[188:191], a[158:159], v[72:73], a[188:191]// 00000000ADB0: D3E180BC 0EF2919E
	buffer_atomic_add_f32 v137, v8, s[32:35], 0 offen          // 00000000ADB8: E1341000 80088908
	v_mfma_f32_16x16x16_bf16 a[192:195], a[144:145], v[74:75], a[192:195]// 00000000ADC0: D3E180C0 0F029590
	ds_read_b128 v[56:59], v17 offset:19712                    // 00000000ADC8: D9FE4D00 38000011
	v_mfma_f32_16x16x16_bf16 a[196:199], a[146:147], v[74:75], a[196:199]// 00000000ADD0: D3E180C4 0F129592
	v_mfma_f32_16x16x16_bf16 a[200:203], a[148:149], v[74:75], a[200:203]// 00000000ADD8: D3E180C8 0F229594
	ds_read_b128 v[60:63], v17 offset:20864                    // 00000000ADE0: D9FE5180 3C000011
	v_mfma_f32_16x16x16_bf16 a[204:207], a[150:151], v[74:75], a[204:207]// 00000000ADE8: D3E180CC 0F329596
	v_mfma_f32_16x16x16_bf16 a[208:211], a[152:153], v[74:75], a[208:211]// 00000000ADF0: D3E180D0 0F429598
	ds_read_b128 v[64:67], v17 offset:22016                    // 00000000ADF8: D9FE5600 40000011
	v_mfma_f32_16x16x16_bf16 a[212:215], a[154:155], v[74:75], a[212:215]// 00000000AE00: D3E180D4 0F52959A
	buffer_atomic_add_f32 v138, v7, s[32:35], 0 offen offset:128// 00000000AE08: E1341080 80088A07
	v_mfma_f32_16x16x16_bf16 a[216:219], a[156:157], v[74:75], a[216:219]// 00000000AE10: D3E180D8 0F62959C
	ds_read_b128 v[68:71], v17 offset:23168                    // 00000000AE18: D9FE5A80 44000011
	v_mfma_f32_16x16x16_bf16 a[220:223], a[158:159], v[74:75], a[220:223]// 00000000AE20: D3E180DC 0F72959E
	v_mfma_f32_16x16x16_bf16 a[224:227], a[144:145], v[76:77], a[224:227]// 00000000AE28: D3E180E0 0F829990
	ds_write_b32 v13, v88 offset:13056                         // 00000000AE30: D81A3300 0000580D
	v_mfma_f32_16x16x16_bf16 a[228:231], a[146:147], v[76:77], a[228:231]// 00000000AE38: D3E180E4 0F929992
	v_mfma_f32_16x16x16_bf16 a[232:235], a[148:149], v[76:77], a[232:235]// 00000000AE40: D3E180E8 0FA29994
	ds_write_b32 v13, v89 offset:14112                         // 00000000AE48: D81A3720 0000590D
	v_mfma_f32_16x16x16_bf16 a[236:239], a[150:151], v[76:77], a[236:239]// 00000000AE50: D3E180EC 0FB29996
	buffer_atomic_add_f32 v139, v8, s[32:35], 0 offen offset:128// 00000000AE58: E1341080 80088B08
	v_mfma_f32_16x16x16_bf16 a[240:243], a[152:153], v[76:77], a[240:243]// 00000000AE60: D3E180F0 0FC29998
	ds_write_b32 v13, v90 offset:13184                         // 00000000AE68: D81A3380 00005A0D
	v_mfma_f32_16x16x16_bf16 a[244:247], a[154:155], v[76:77], a[244:247]// 00000000AE70: D3E180F4 0FD2999A
	v_mfma_f32_16x16x16_bf16 a[248:251], a[156:157], v[76:77], a[248:251]// 00000000AE78: D3E180F8 0FE2999C
	ds_write_b32 v13, v91 offset:14240                         // 00000000AE80: D81A37A0 00005B0D
	v_mfma_f32_16x16x16_bf16 a[252:255], a[158:159], v[76:77], a[252:255]// 00000000AE88: D3E180FC 0FF2999E
	s_waitcnt vmcnt(8) lgkmcnt(4)                              // 00000000AE90: BF8C0478
	s_barrier                                                  // 00000000AE94: BF8A0000
	v_mfma_f32_16x16x16_bf16 v[128:131], v[48:49], a[48:49], 0 // 00000000AE98: D3E10080 12026130
	ds_read_b128 a[144:147], v10                               // 00000000AEA0: DBFE0000 9000000A
	v_mov_b32_e32 v32, 0                                       // 00000000AEA8: 7E400280
	s_mov_b64 exec, s[88:89]                                   // 00000000AEAC: BEFE0158
	buffer_load_dword v32, v1, s[8:11], 0 idxen                // 00000000AEB0: E0502000 80022001
	s_mov_b64 exec, s[86:87]                                   // 00000000AEB8: BEFE0156
	v_mfma_f32_16x16x16_bf16 v[128:131], v[50:51], a[52:53], v[128:131]// 00000000AEBC: D3E10080 16026932
	v_cmp_eq_u32_e32 vcc, v124, v151                           // 00000000AEC4: 7D952F7C
	v_mov_b32_e32 v28, 0                                       // 00000000AEC8: 7E380280
	v_cndmask_b32_e32 v124, v124, v28, vcc                     // 00000000AECC: 00F8397C
	v_mul_f32_e32 v124, s48, v124                              // 00000000AED0: 0AF8F830
	s_nop 0                                                    // 00000000AED4: BF800000
	v_mfma_f32_16x16x16_bf16 v[128:131], v[52:53], a[56:57], v[128:131]// 00000000AED8: D3E10080 16027134
	ds_read_b128 a[148:151], v10 offset:512                    // 00000000AEE0: DBFE0200 9400000A
	v_mov_b32_e32 v33, 0                                       // 00000000AEE8: 7E420280
	s_mov_b64 exec, s[88:89]                                   // 00000000AEEC: BEFE0158
	buffer_load_dword v33, v2, s[8:11], 0 idxen                // 00000000AEF0: E0502000 80022102
	s_mov_b64 exec, s[86:87]                                   // 00000000AEF8: BEFE0156
	v_mfma_f32_16x16x16_bf16 v[128:131], v[54:55], a[60:61], v[128:131]// 00000000AEFC: D3E10080 16027936
	v_mfma_f32_16x16x16_bf16 v[128:131], v[56:57], a[64:65], v[128:131]// 00000000AF04: D3E10080 16028138
	ds_read_b128 a[152:155], v10 offset:2176                   // 00000000AF0C: DBFE0880 9800000A
	v_mov_b32_e32 v34, 0                                       // 00000000AF14: 7E440280
	s_mov_b64 exec, s[88:89]                                   // 00000000AF18: BEFE0158
	buffer_load_dword v34, v3, s[8:11], 0 idxen                // 00000000AF1C: E0502000 80022203
	s_mov_b64 exec, s[86:87]                                   // 00000000AF24: BEFE0156
	v_mfma_f32_16x16x16_bf16 v[128:131], v[58:59], a[68:69], v[128:131]// 00000000AF28: D3E10080 1602893A
	v_perm_b32 v84, v37, v36, s63                              // 00000000AF30: D1ED0054 00FE4925
	v_perm_b32 v85, v37, v36, s64                              // 00000000AF38: D1ED0055 01024925
	v_mfma_f32_16x16x16_bf16 v[128:131], v[60:61], a[72:73], v[128:131]// 00000000AF40: D3E10080 1602913C
	ds_read_b128 a[156:159], v10 offset:2688                   // 00000000AF48: DBFE0A80 9C00000A
	v_mov_b32_e32 v35, 0                                       // 00000000AF50: 7E460280
	s_mov_b64 exec, s[88:89]                                   // 00000000AF54: BEFE0158
	buffer_load_dword v35, v4, s[8:11], 0 idxen                // 00000000AF58: E0502000 80022304
	s_mov_b64 exec, s[86:87]                                   // 00000000AF60: BEFE0156
	v_mfma_f32_16x16x16_bf16 v[128:131], v[62:63], a[76:77], v[128:131]// 00000000AF64: D3E10080 1602993E
	v_perm_b32 v86, v39, v38, s63                              // 00000000AF6C: D1ED0056 00FE4D27
	v_perm_b32 v87, v39, v38, s64                              // 00000000AF74: D1ED0057 01024D27
	v_mfma_f32_16x16x16_bf16 v[128:131], v[64:65], a[80:81], v[128:131]// 00000000AF7C: D3E10080 1602A140
	ds_read_b128 v[92:95], v10 offset:8704                     // 00000000AF84: D9FE2200 5C00000A
	v_mov_b32_e32 v40, 0                                       // 00000000AF8C: 7E500280
	s_mov_b64 exec, s[88:89]                                   // 00000000AF90: BEFE0158
	buffer_load_dword v40, v252, s[20:23], 0 idxen             // 00000000AF94: E0502000 800528FC
	s_mov_b64 exec, s[86:87]                                   // 00000000AF9C: BEFE0156
	v_mfma_f32_16x16x16_bf16 v[128:131], v[66:67], a[84:85], v[128:131]// 00000000AFA0: D3E10080 1602A942
	v_perm_b32 v88, v45, v44, s63                              // 00000000AFA8: D1ED0058 00FE592D
	v_perm_b32 v89, v45, v44, s64                              // 00000000AFB0: D1ED0059 0102592D
	v_mfma_f32_16x16x16_bf16 v[128:131], v[68:69], a[88:89], v[128:131]// 00000000AFB8: D3E10080 1602B144
	ds_read_b128 v[96:99], v10 offset:9216                     // 00000000AFC0: D9FE2400 6000000A
	v_mov_b32_e32 v41, 0                                       // 00000000AFC8: 7E520280
	s_mov_b64 exec, s[88:89]                                   // 00000000AFCC: BEFE0158
	buffer_load_dword v41, v253, s[20:23], 0 idxen             // 00000000AFD0: E0502000 800529FD
	s_mov_b64 exec, s[86:87]                                   // 00000000AFD8: BEFE0156
	v_mfma_f32_16x16x16_bf16 v[128:131], v[70:71], a[92:93], v[128:131]// 00000000AFDC: D3E10080 1602B946
	v_perm_b32 v90, v47, v46, s63                              // 00000000AFE4: D1ED005A 00FE5D2F
	v_perm_b32 v91, v47, v46, s64                              // 00000000AFEC: D1ED005B 01025D2F
	v_mfma_f32_16x16x16_bf16 v[132:135], v[48:49], a[50:51], 0 // 00000000AFF4: D3E10084 12026530
	ds_read_b128 v[100:103], v10 offset:10880                  // 00000000AFFC: D9FE2A80 6400000A
	v_mov_b32_e32 v42, 0                                       // 00000000B004: 7E540280
	s_mov_b64 exec, s[88:89]                                   // 00000000B008: BEFE0158
	buffer_load_dword v42, v254, s[20:23], 0 idxen             // 00000000B00C: E0502000 80052AFE
	s_mov_b64 exec, s[86:87]                                   // 00000000B014: BEFE0156
	v_mfma_f32_16x16x16_bf16 v[132:135], v[50:51], a[54:55], v[132:135]// 00000000B018: D3E10084 16126D32
	v_mov_b32_dpp v127, v124 quad_perm:[3,3,3,3] row_mask:0xf bank_mask:0xf// 00000000B020: 7EFE02FA FF00FF7C
	v_mov_b32_dpp v126, v124 quad_perm:[2,2,2,2] row_mask:0xf bank_mask:0xf// 00000000B028: 7EFC02FA FF00AA7C
	v_mfma_f32_16x16x16_bf16 v[132:135], v[52:53], a[58:59], v[132:135]// 00000000B030: D3E10084 16127534
	ds_read_b128 v[104:107], v10 offset:11392                  // 00000000B038: D9FE2C80 6800000A
	v_mov_b32_e32 v43, 0                                       // 00000000B040: 7E560280
	s_mov_b64 exec, s[88:89]                                   // 00000000B044: BEFE0158
	buffer_load_dword v43, v255, s[20:23], 0 idxen             // 00000000B048: E0502000 80052BFF
	s_mov_b64 exec, s[86:87]                                   // 00000000B050: BEFE0156
	v_mfma_f32_16x16x16_bf16 v[132:135], v[54:55], a[62:63], v[132:135]// 00000000B054: D3E10084 16127D36
	v_mov_b32_dpp v125, v124 quad_perm:[1,1,1,1] row_mask:0xf bank_mask:0xf// 00000000B05C: 7EFA02FA FF00557C
	v_mov_b32_dpp v124, v124 quad_perm:[0,0,0,0] row_mask:0xf bank_mask:0xf// 00000000B064: 7EF802FA FF00007C
	s_add_u32 s60, 64, s59                                     // 00000000B06C: 803C3BC0
	v_mfma_f32_16x16x16_bf16 v[132:135], v[56:57], a[66:67], v[132:135]// 00000000B070: D3E10084 16128538
	buffer_load_dword v9, s[24:27], 0 idxen lds                // 00000000B078: E0512000 80060009
	v_mfma_f32_16x16x16_bf16 v[132:135], v[58:59], a[70:71], v[132:135]// 00000000B080: D3E10084 16128D3A
	s_cmp_lt_u32 s60, s58                                      // 00000000B088: BF0A3A3C
	s_cselect_b32 s68, s68, 0                                  // 00000000B08C: 85448044
	s_cselect_b32 s97, s97, 0                                  // 00000000B090: 85618061
	s_cselect_b32 s69, s69, 0                                  // 00000000B094: 85458045
	v_mfma_f32_16x16x16_bf16 v[132:135], v[60:61], a[74:75], v[132:135]// 00000000B098: D3E10084 1612953C
	v_add_u32_e32 v1, s68, v1                                  // 00000000B0A0: 68020244
	v_add_u32_e32 v2, s68, v2                                  // 00000000B0A4: 68040444
	v_add_u32_e32 v3, s68, v3                                  // 00000000B0A8: 68060644
	v_add_u32_e32 v4, s68, v4                                  // 00000000B0AC: 68080844
	v_mfma_f32_16x16x16_bf16 v[132:135], v[62:63], a[78:79], v[132:135]// 00000000B0B0: D3E10084 16129D3E
	v_add_u32_e32 v252, s97, v252                              // 00000000B0B8: 69F9F861
	v_add_u32_e32 v253, s97, v253                              // 00000000B0BC: 69FBFA61
	v_add_u32_e32 v254, s97, v254                              // 00000000B0C0: 69FDFC61
	v_add_u32_e32 v255, s97, v255                              // 00000000B0C4: 69FFFE61
	v_mfma_f32_16x16x16_bf16 v[132:135], v[64:65], a[82:83], v[132:135]// 00000000B0C8: D3E10084 1612A540
	s_mov_b32 m0, s77                                          // 00000000B0D0: BEFC004D
	v_add_u32_e32 v9, s69, v9                                  // 00000000B0D4: 68121245
	v_mfma_f32_16x16x16_bf16 v[132:135], v[66:67], a[86:87], v[132:135]// 00000000B0D8: D3E10084 1612AD42
	s_cmp_ge_u32 s59, s101                                     // 00000000B0E0: BF09653B
	s_cselect_b32 s66, s67, s66                                // 00000000B0E4: 85424243
	v_mfma_f32_16x16x16_bf16 v[132:135], v[68:69], a[90:91], v[132:135]// 00000000B0E8: D3E10084 1612B544
	s_addk_i32 s59, 0x10                                       // 00000000B0F0: B73B0010
	s_nop 0                                                    // 00000000B0F4: BF800000
	s_cmp_lt_i32 s59, s58                                      // 00000000B0F8: BF043A3B
	v_mfma_f32_16x16x16_bf16 v[132:135], v[70:71], a[94:95], v[132:135]// 00000000B0FC: D3E10084 1612BD46
	s_cbranch_scc0 label_1361                                  // 00000000B104: BF84F693
	s_branch label_1364                                        // 00000000B108: BF82F695

000000000000b10c <label_1CDB>:
	buffer_atomic_add_f32 v140, v7, s[32:35], 0 offen offset:256// 00000000B10C: E1341100 80088C07
	buffer_atomic_add_f32 v141, v8, s[32:35], 0 offen offset:256// 00000000B114: E1341100 80088D08
	buffer_atomic_add_f32 v142, v7, s[32:35], 0 offen offset:384// 00000000B11C: E1341180 80088E07
	buffer_atomic_add_f32 v143, v8, s[32:35], 0 offen offset:384// 00000000B124: E1341180 80088F08
	v_add_u32_e32 v7, s66, v7                                  // 00000000B12C: 680E0E42
	v_add_u32_e32 v8, s66, v8                                  // 00000000B130: 68101042
	v_lshrrev_b32_e32 v28, 5, v0                               // 00000000B134: 20380085
	v_mul_i32_i24_e32 v25, 0x42, v28                           // 00000000B138: 0C3238FF 00000042
	v_and_b32_e32 v28, 31, v0                                  // 00000000B140: 2638009F
	v_mul_i32_i24_e32 v29, 2, v28                              // 00000000B144: 0C3A3882
	v_add_u32_e32 v25, v29, v25                                // 00000000B148: 6832331D
	s_mul_i32 s60, s46, 0x420                                  // 00000000B14C: 923CFF2E 00000420
	v_add_u32_e32 v25, s60, v25                                // 00000000B154: 6832323C
	v_lshlrev_b32_e32 v25, 2, v25                              // 00000000B158: 24323282
	v_mul_f32_e32 v128, s47, v128                              // 00000000B15C: 0B01002F
	v_mul_f32_e32 v129, s47, v129                              // 00000000B160: 0B03022F
	v_mul_f32_e32 v130, s47, v130                              // 00000000B164: 0B05042F
	v_mul_f32_e32 v131, s47, v131                              // 00000000B168: 0B07062F
	v_mul_f32_e32 v132, s47, v132                              // 00000000B16C: 0B09082F
	v_mul_f32_e32 v133, s47, v133                              // 00000000B170: 0B0B0A2F
	v_mul_f32_e32 v134, s47, v134                              // 00000000B174: 0B0D0C2F
	v_mul_f32_e32 v135, s47, v135                              // 00000000B178: 0B0F0E2F
	ds_write_b64 v20, v[128:129] offset:24320                  // 00000000B17C: D89A5F00 00008014
	ds_write_b64 v20, v[130:131] offset:24832                  // 00000000B184: D89A6100 00008214
	ds_write_b64 v20, v[132:133] offset:25344                  // 00000000B18C: D89A6300 00008414
	ds_write_b64 v20, v[134:135] offset:25856                  // 00000000B194: D89A6500 00008614
	s_waitcnt lgkmcnt(0)                                       // 00000000B19C: BF8CC07F
	s_barrier                                                  // 00000000B1A0: BF8A0000
	ds_read_b64 v[136:137], v19 offset:24320                   // 00000000B1A4: D8EC5F00 88000013
	ds_read_b64 v[138:139], v19 offset:26368                   // 00000000B1AC: D8EC6700 8A000013
	ds_read_b64 v[140:141], v19 offset:28416                   // 00000000B1B4: D8EC6F00 8C000013
	ds_read_b64 v[142:143], v19 offset:30464                   // 00000000B1BC: D8EC7700 8E000013
	s_waitcnt lgkmcnt(0)                                       // 00000000B1C4: BF8CC07F
	s_barrier                                                  // 00000000B1C8: BF8A0000
	buffer_atomic_add_f32 v136, v7, s[32:35], 0 offen          // 00000000B1CC: E1341000 80088807
	buffer_atomic_add_f32 v137, v8, s[32:35], 0 offen          // 00000000B1D4: E1341000 80088908
	buffer_atomic_add_f32 v138, v7, s[32:35], 0 offen offset:128// 00000000B1DC: E1341080 80088A07
	buffer_atomic_add_f32 v139, v8, s[32:35], 0 offen offset:128// 00000000B1E4: E1341080 80088B08
	buffer_atomic_add_f32 v140, v7, s[32:35], 0 offen offset:256// 00000000B1EC: E1341100 80088C07
	buffer_atomic_add_f32 v141, v8, s[32:35], 0 offen offset:256// 00000000B1F4: E1341100 80088D08
	buffer_atomic_add_f32 v142, v7, s[32:35], 0 offen offset:384// 00000000B1FC: E1341180 80088E07
	buffer_atomic_add_f32 v143, v8, s[32:35], 0 offen offset:384// 00000000B204: E1341180 80088F08
	v_lshrrev_b32_e32 v28, 4, v0                               // 00000000B20C: 20380084
	v_mul_i32_i24_e32 v24, 2, v28                              // 00000000B210: 0C303882
	v_and_b32_e32 v28, 15, v0                                  // 00000000B214: 2638008F
	v_mul_i32_i24_e32 v29, 0x42, v28                           // 00000000B218: 0C3A38FF 00000042
	v_add_u32_e32 v24, v29, v24                                // 00000000B220: 6830311D
	s_mul_i32 s60, s46, 0x420                                  // 00000000B224: 923CFF2E 00000420
	v_add_u32_e32 v24, s60, v24                                // 00000000B22C: 6830303C
	v_lshlrev_b32_e32 v24, 2, v24                              // 00000000B230: 24303082
	v_accvgpr_read_b32 v30, a160                               // 00000000B234: D3D8401E 180001A0
	v_accvgpr_read_b32 v31, a161                               // 00000000B23C: D3D8401F 180001A1
	v_mul_f32_e32 v30, s47, v30                                // 00000000B244: 0A3C3C2F
	v_mul_f32_e32 v31, s47, v31                                // 00000000B248: 0A3E3E2F
	v_cmp_u_f32_e64 s[74:75], v30, v30                         // 00000000B24C: D048004A 00023D1E
	v_bfe_u32 v248, v30, 16, 1                                 // 00000000B254: D1C800F8 0205211E
	v_add3_u32 v248, v30, v248, v251                           // 00000000B25C: D1FF00F8 07EFF11E
	v_cndmask_b32_e64 v28, v248, v250, s[74:75]                // 00000000B264: D100001C 012BF5F8
	v_lshrrev_b32_e32 v28, 16, v28                             // 00000000B26C: 20383890
	v_cmp_u_f32_e64 s[74:75], v31, v31                         // 00000000B270: D048004A 00023F1F
	v_bfe_u32 v248, v31, 16, 1                                 // 00000000B278: D1C800F8 0205211F
	v_add3_u32 v248, v31, v248, v251                           // 00000000B280: D1FF00F8 07EFF11F
	v_cndmask_b32_e64 v29, v248, v250, s[74:75]                // 00000000B288: D100001D 012BF5F8
	v_and_or_b32 v48, v29, v249, v28                           // 00000000B290: D2010030 0473F31D
	v_accvgpr_read_b32 v30, a162                               // 00000000B298: D3D8401E 180001A2
	v_accvgpr_read_b32 v31, a163                               // 00000000B2A0: D3D8401F 180001A3
	v_mul_f32_e32 v30, s47, v30                                // 00000000B2A8: 0A3C3C2F
	v_mul_f32_e32 v31, s47, v31                                // 00000000B2AC: 0A3E3E2F
	v_cmp_u_f32_e64 s[74:75], v30, v30                         // 00000000B2B0: D048004A 00023D1E
	v_bfe_u32 v248, v30, 16, 1                                 // 00000000B2B8: D1C800F8 0205211E
	v_add3_u32 v248, v30, v248, v251                           // 00000000B2C0: D1FF00F8 07EFF11E
	v_cndmask_b32_e64 v28, v248, v250, s[74:75]                // 00000000B2C8: D100001C 012BF5F8
	v_lshrrev_b32_e32 v28, 16, v28                             // 00000000B2D0: 20383890
	v_cmp_u_f32_e64 s[74:75], v31, v31                         // 00000000B2D4: D048004A 00023F1F
	v_bfe_u32 v248, v31, 16, 1                                 // 00000000B2DC: D1C800F8 0205211F
	v_add3_u32 v248, v31, v248, v251                           // 00000000B2E4: D1FF00F8 07EFF11F
	v_cndmask_b32_e64 v29, v248, v250, s[74:75]                // 00000000B2EC: D100001D 012BF5F8
	v_and_or_b32 v49, v29, v249, v28                           // 00000000B2F4: D2010031 0473F31D
	v_accvgpr_read_b32 v30, a164                               // 00000000B2FC: D3D8401E 180001A4
	v_accvgpr_read_b32 v31, a165                               // 00000000B304: D3D8401F 180001A5
	v_mul_f32_e32 v30, s47, v30                                // 00000000B30C: 0A3C3C2F
	v_mul_f32_e32 v31, s47, v31                                // 00000000B310: 0A3E3E2F
	v_cmp_u_f32_e64 s[74:75], v30, v30                         // 00000000B314: D048004A 00023D1E
	v_bfe_u32 v248, v30, 16, 1                                 // 00000000B31C: D1C800F8 0205211E
	v_add3_u32 v248, v30, v248, v251                           // 00000000B324: D1FF00F8 07EFF11E
	v_cndmask_b32_e64 v28, v248, v250, s[74:75]                // 00000000B32C: D100001C 012BF5F8
	v_lshrrev_b32_e32 v28, 16, v28                             // 00000000B334: 20383890
	v_cmp_u_f32_e64 s[74:75], v31, v31                         // 00000000B338: D048004A 00023F1F
	v_bfe_u32 v248, v31, 16, 1                                 // 00000000B340: D1C800F8 0205211F
	v_add3_u32 v248, v31, v248, v251                           // 00000000B348: D1FF00F8 07EFF11F
	v_cndmask_b32_e64 v29, v248, v250, s[74:75]                // 00000000B350: D100001D 012BF5F8
	v_and_or_b32 v50, v29, v249, v28                           // 00000000B358: D2010032 0473F31D
	v_accvgpr_read_b32 v30, a166                               // 00000000B360: D3D8401E 180001A6
	v_accvgpr_read_b32 v31, a167                               // 00000000B368: D3D8401F 180001A7
	v_mul_f32_e32 v30, s47, v30                                // 00000000B370: 0A3C3C2F
	v_mul_f32_e32 v31, s47, v31                                // 00000000B374: 0A3E3E2F
	v_cmp_u_f32_e64 s[74:75], v30, v30                         // 00000000B378: D048004A 00023D1E
	v_bfe_u32 v248, v30, 16, 1                                 // 00000000B380: D1C800F8 0205211E
	v_add3_u32 v248, v30, v248, v251                           // 00000000B388: D1FF00F8 07EFF11E
	v_cndmask_b32_e64 v28, v248, v250, s[74:75]                // 00000000B390: D100001C 012BF5F8
	v_lshrrev_b32_e32 v28, 16, v28                             // 00000000B398: 20383890
	v_cmp_u_f32_e64 s[74:75], v31, v31                         // 00000000B39C: D048004A 00023F1F
	v_bfe_u32 v248, v31, 16, 1                                 // 00000000B3A4: D1C800F8 0205211F
	v_add3_u32 v248, v31, v248, v251                           // 00000000B3AC: D1FF00F8 07EFF11F
	v_cndmask_b32_e64 v29, v248, v250, s[74:75]                // 00000000B3B4: D100001D 012BF5F8
	v_and_or_b32 v51, v29, v249, v28                           // 00000000B3BC: D2010033 0473F31D
	v_accvgpr_read_b32 v30, a168                               // 00000000B3C4: D3D8401E 180001A8
	v_accvgpr_read_b32 v31, a169                               // 00000000B3CC: D3D8401F 180001A9
	v_mul_f32_e32 v30, s47, v30                                // 00000000B3D4: 0A3C3C2F
	v_mul_f32_e32 v31, s47, v31                                // 00000000B3D8: 0A3E3E2F
	v_cmp_u_f32_e64 s[74:75], v30, v30                         // 00000000B3DC: D048004A 00023D1E
	v_bfe_u32 v248, v30, 16, 1                                 // 00000000B3E4: D1C800F8 0205211E
	v_add3_u32 v248, v30, v248, v251                           // 00000000B3EC: D1FF00F8 07EFF11E
	v_cndmask_b32_e64 v28, v248, v250, s[74:75]                // 00000000B3F4: D100001C 012BF5F8
	v_lshrrev_b32_e32 v28, 16, v28                             // 00000000B3FC: 20383890
	v_cmp_u_f32_e64 s[74:75], v31, v31                         // 00000000B400: D048004A 00023F1F
	v_bfe_u32 v248, v31, 16, 1                                 // 00000000B408: D1C800F8 0205211F
	v_add3_u32 v248, v31, v248, v251                           // 00000000B410: D1FF00F8 07EFF11F
	v_cndmask_b32_e64 v29, v248, v250, s[74:75]                // 00000000B418: D100001D 012BF5F8
	v_and_or_b32 v52, v29, v249, v28                           // 00000000B420: D2010034 0473F31D
	v_accvgpr_read_b32 v30, a170                               // 00000000B428: D3D8401E 180001AA
	v_accvgpr_read_b32 v31, a171                               // 00000000B430: D3D8401F 180001AB
	v_mul_f32_e32 v30, s47, v30                                // 00000000B438: 0A3C3C2F
	v_mul_f32_e32 v31, s47, v31                                // 00000000B43C: 0A3E3E2F
	v_cmp_u_f32_e64 s[74:75], v30, v30                         // 00000000B440: D048004A 00023D1E
	v_bfe_u32 v248, v30, 16, 1                                 // 00000000B448: D1C800F8 0205211E
	v_add3_u32 v248, v30, v248, v251                           // 00000000B450: D1FF00F8 07EFF11E
	v_cndmask_b32_e64 v28, v248, v250, s[74:75]                // 00000000B458: D100001C 012BF5F8
	v_lshrrev_b32_e32 v28, 16, v28                             // 00000000B460: 20383890
	v_cmp_u_f32_e64 s[74:75], v31, v31                         // 00000000B464: D048004A 00023F1F
	v_bfe_u32 v248, v31, 16, 1                                 // 00000000B46C: D1C800F8 0205211F
	v_add3_u32 v248, v31, v248, v251                           // 00000000B474: D1FF00F8 07EFF11F
	v_cndmask_b32_e64 v29, v248, v250, s[74:75]                // 00000000B47C: D100001D 012BF5F8
	v_and_or_b32 v53, v29, v249, v28                           // 00000000B484: D2010035 0473F31D
	v_accvgpr_read_b32 v30, a172                               // 00000000B48C: D3D8401E 180001AC
	v_accvgpr_read_b32 v31, a173                               // 00000000B494: D3D8401F 180001AD
	v_mul_f32_e32 v30, s47, v30                                // 00000000B49C: 0A3C3C2F
	v_mul_f32_e32 v31, s47, v31                                // 00000000B4A0: 0A3E3E2F
	v_cmp_u_f32_e64 s[74:75], v30, v30                         // 00000000B4A4: D048004A 00023D1E
	v_bfe_u32 v248, v30, 16, 1                                 // 00000000B4AC: D1C800F8 0205211E
	v_add3_u32 v248, v30, v248, v251                           // 00000000B4B4: D1FF00F8 07EFF11E
	v_cndmask_b32_e64 v28, v248, v250, s[74:75]                // 00000000B4BC: D100001C 012BF5F8
	v_lshrrev_b32_e32 v28, 16, v28                             // 00000000B4C4: 20383890
	v_cmp_u_f32_e64 s[74:75], v31, v31                         // 00000000B4C8: D048004A 00023F1F
	v_bfe_u32 v248, v31, 16, 1                                 // 00000000B4D0: D1C800F8 0205211F
	v_add3_u32 v248, v31, v248, v251                           // 00000000B4D8: D1FF00F8 07EFF11F
	v_cndmask_b32_e64 v29, v248, v250, s[74:75]                // 00000000B4E0: D100001D 012BF5F8
	v_and_or_b32 v54, v29, v249, v28                           // 00000000B4E8: D2010036 0473F31D
	v_accvgpr_read_b32 v30, a174                               // 00000000B4F0: D3D8401E 180001AE
	v_accvgpr_read_b32 v31, a175                               // 00000000B4F8: D3D8401F 180001AF
	v_mul_f32_e32 v30, s47, v30                                // 00000000B500: 0A3C3C2F
	v_mul_f32_e32 v31, s47, v31                                // 00000000B504: 0A3E3E2F
	v_cmp_u_f32_e64 s[74:75], v30, v30                         // 00000000B508: D048004A 00023D1E
	v_bfe_u32 v248, v30, 16, 1                                 // 00000000B510: D1C800F8 0205211E
	v_add3_u32 v248, v30, v248, v251                           // 00000000B518: D1FF00F8 07EFF11E
	v_cndmask_b32_e64 v28, v248, v250, s[74:75]                // 00000000B520: D100001C 012BF5F8
	v_lshrrev_b32_e32 v28, 16, v28                             // 00000000B528: 20383890
	v_cmp_u_f32_e64 s[74:75], v31, v31                         // 00000000B52C: D048004A 00023F1F
	v_bfe_u32 v248, v31, 16, 1                                 // 00000000B534: D1C800F8 0205211F
	v_add3_u32 v248, v31, v248, v251                           // 00000000B53C: D1FF00F8 07EFF11F
	v_cndmask_b32_e64 v29, v248, v250, s[74:75]                // 00000000B544: D100001D 012BF5F8
	v_and_or_b32 v55, v29, v249, v28                           // 00000000B54C: D2010037 0473F31D
	v_accvgpr_read_b32 v30, a176                               // 00000000B554: D3D8401E 180001B0
	v_accvgpr_read_b32 v31, a177                               // 00000000B55C: D3D8401F 180001B1
	v_mul_f32_e32 v30, s47, v30                                // 00000000B564: 0A3C3C2F
	v_mul_f32_e32 v31, s47, v31                                // 00000000B568: 0A3E3E2F
	v_cmp_u_f32_e64 s[74:75], v30, v30                         // 00000000B56C: D048004A 00023D1E
	v_bfe_u32 v248, v30, 16, 1                                 // 00000000B574: D1C800F8 0205211E
	v_add3_u32 v248, v30, v248, v251                           // 00000000B57C: D1FF00F8 07EFF11E
	v_cndmask_b32_e64 v28, v248, v250, s[74:75]                // 00000000B584: D100001C 012BF5F8
	v_lshrrev_b32_e32 v28, 16, v28                             // 00000000B58C: 20383890
	v_cmp_u_f32_e64 s[74:75], v31, v31                         // 00000000B590: D048004A 00023F1F
	v_bfe_u32 v248, v31, 16, 1                                 // 00000000B598: D1C800F8 0205211F
	v_add3_u32 v248, v31, v248, v251                           // 00000000B5A0: D1FF00F8 07EFF11F
	v_cndmask_b32_e64 v29, v248, v250, s[74:75]                // 00000000B5A8: D100001D 012BF5F8
	v_and_or_b32 v56, v29, v249, v28                           // 00000000B5B0: D2010038 0473F31D
	v_accvgpr_read_b32 v30, a178                               // 00000000B5B8: D3D8401E 180001B2
	v_accvgpr_read_b32 v31, a179                               // 00000000B5C0: D3D8401F 180001B3
	v_mul_f32_e32 v30, s47, v30                                // 00000000B5C8: 0A3C3C2F
	v_mul_f32_e32 v31, s47, v31                                // 00000000B5CC: 0A3E3E2F
	v_cmp_u_f32_e64 s[74:75], v30, v30                         // 00000000B5D0: D048004A 00023D1E
	v_bfe_u32 v248, v30, 16, 1                                 // 00000000B5D8: D1C800F8 0205211E
	v_add3_u32 v248, v30, v248, v251                           // 00000000B5E0: D1FF00F8 07EFF11E
	v_cndmask_b32_e64 v28, v248, v250, s[74:75]                // 00000000B5E8: D100001C 012BF5F8
	v_lshrrev_b32_e32 v28, 16, v28                             // 00000000B5F0: 20383890
	v_cmp_u_f32_e64 s[74:75], v31, v31                         // 00000000B5F4: D048004A 00023F1F
	v_bfe_u32 v248, v31, 16, 1                                 // 00000000B5FC: D1C800F8 0205211F
	v_add3_u32 v248, v31, v248, v251                           // 00000000B604: D1FF00F8 07EFF11F
	v_cndmask_b32_e64 v29, v248, v250, s[74:75]                // 00000000B60C: D100001D 012BF5F8
	v_and_or_b32 v57, v29, v249, v28                           // 00000000B614: D2010039 0473F31D
	v_accvgpr_read_b32 v30, a180                               // 00000000B61C: D3D8401E 180001B4
	v_accvgpr_read_b32 v31, a181                               // 00000000B624: D3D8401F 180001B5
	v_mul_f32_e32 v30, s47, v30                                // 00000000B62C: 0A3C3C2F
	v_mul_f32_e32 v31, s47, v31                                // 00000000B630: 0A3E3E2F
	v_cmp_u_f32_e64 s[74:75], v30, v30                         // 00000000B634: D048004A 00023D1E
	v_bfe_u32 v248, v30, 16, 1                                 // 00000000B63C: D1C800F8 0205211E
	v_add3_u32 v248, v30, v248, v251                           // 00000000B644: D1FF00F8 07EFF11E
	v_cndmask_b32_e64 v28, v248, v250, s[74:75]                // 00000000B64C: D100001C 012BF5F8
	v_lshrrev_b32_e32 v28, 16, v28                             // 00000000B654: 20383890
	v_cmp_u_f32_e64 s[74:75], v31, v31                         // 00000000B658: D048004A 00023F1F
	v_bfe_u32 v248, v31, 16, 1                                 // 00000000B660: D1C800F8 0205211F
	v_add3_u32 v248, v31, v248, v251                           // 00000000B668: D1FF00F8 07EFF11F
	v_cndmask_b32_e64 v29, v248, v250, s[74:75]                // 00000000B670: D100001D 012BF5F8
	v_and_or_b32 v58, v29, v249, v28                           // 00000000B678: D201003A 0473F31D
	v_accvgpr_read_b32 v30, a182                               // 00000000B680: D3D8401E 180001B6
	v_accvgpr_read_b32 v31, a183                               // 00000000B688: D3D8401F 180001B7
	v_mul_f32_e32 v30, s47, v30                                // 00000000B690: 0A3C3C2F
	v_mul_f32_e32 v31, s47, v31                                // 00000000B694: 0A3E3E2F
	v_cmp_u_f32_e64 s[74:75], v30, v30                         // 00000000B698: D048004A 00023D1E
	v_bfe_u32 v248, v30, 16, 1                                 // 00000000B6A0: D1C800F8 0205211E
	v_add3_u32 v248, v30, v248, v251                           // 00000000B6A8: D1FF00F8 07EFF11E
	v_cndmask_b32_e64 v28, v248, v250, s[74:75]                // 00000000B6B0: D100001C 012BF5F8
	v_lshrrev_b32_e32 v28, 16, v28                             // 00000000B6B8: 20383890
	v_cmp_u_f32_e64 s[74:75], v31, v31                         // 00000000B6BC: D048004A 00023F1F
	v_bfe_u32 v248, v31, 16, 1                                 // 00000000B6C4: D1C800F8 0205211F
	v_add3_u32 v248, v31, v248, v251                           // 00000000B6CC: D1FF00F8 07EFF11F
	v_cndmask_b32_e64 v29, v248, v250, s[74:75]                // 00000000B6D4: D100001D 012BF5F8
	v_and_or_b32 v59, v29, v249, v28                           // 00000000B6DC: D201003B 0473F31D
	v_accvgpr_read_b32 v30, a184                               // 00000000B6E4: D3D8401E 180001B8
	v_accvgpr_read_b32 v31, a185                               // 00000000B6EC: D3D8401F 180001B9
	v_mul_f32_e32 v30, s47, v30                                // 00000000B6F4: 0A3C3C2F
	v_mul_f32_e32 v31, s47, v31                                // 00000000B6F8: 0A3E3E2F
	v_cmp_u_f32_e64 s[74:75], v30, v30                         // 00000000B6FC: D048004A 00023D1E
	v_bfe_u32 v248, v30, 16, 1                                 // 00000000B704: D1C800F8 0205211E
	v_add3_u32 v248, v30, v248, v251                           // 00000000B70C: D1FF00F8 07EFF11E
	v_cndmask_b32_e64 v28, v248, v250, s[74:75]                // 00000000B714: D100001C 012BF5F8
	v_lshrrev_b32_e32 v28, 16, v28                             // 00000000B71C: 20383890
	v_cmp_u_f32_e64 s[74:75], v31, v31                         // 00000000B720: D048004A 00023F1F
	v_bfe_u32 v248, v31, 16, 1                                 // 00000000B728: D1C800F8 0205211F
	v_add3_u32 v248, v31, v248, v251                           // 00000000B730: D1FF00F8 07EFF11F
	v_cndmask_b32_e64 v29, v248, v250, s[74:75]                // 00000000B738: D100001D 012BF5F8
	v_and_or_b32 v60, v29, v249, v28                           // 00000000B740: D201003C 0473F31D
	v_accvgpr_read_b32 v30, a186                               // 00000000B748: D3D8401E 180001BA
	v_accvgpr_read_b32 v31, a187                               // 00000000B750: D3D8401F 180001BB
	v_mul_f32_e32 v30, s47, v30                                // 00000000B758: 0A3C3C2F
	v_mul_f32_e32 v31, s47, v31                                // 00000000B75C: 0A3E3E2F
	v_cmp_u_f32_e64 s[74:75], v30, v30                         // 00000000B760: D048004A 00023D1E
	v_bfe_u32 v248, v30, 16, 1                                 // 00000000B768: D1C800F8 0205211E
	v_add3_u32 v248, v30, v248, v251                           // 00000000B770: D1FF00F8 07EFF11E
	v_cndmask_b32_e64 v28, v248, v250, s[74:75]                // 00000000B778: D100001C 012BF5F8
	v_lshrrev_b32_e32 v28, 16, v28                             // 00000000B780: 20383890
	v_cmp_u_f32_e64 s[74:75], v31, v31                         // 00000000B784: D048004A 00023F1F
	v_bfe_u32 v248, v31, 16, 1                                 // 00000000B78C: D1C800F8 0205211F
	v_add3_u32 v248, v31, v248, v251                           // 00000000B794: D1FF00F8 07EFF11F
	v_cndmask_b32_e64 v29, v248, v250, s[74:75]                // 00000000B79C: D100001D 012BF5F8
	v_and_or_b32 v61, v29, v249, v28                           // 00000000B7A4: D201003D 0473F31D
	v_accvgpr_read_b32 v30, a188                               // 00000000B7AC: D3D8401E 180001BC
	v_accvgpr_read_b32 v31, a189                               // 00000000B7B4: D3D8401F 180001BD
	v_mul_f32_e32 v30, s47, v30                                // 00000000B7BC: 0A3C3C2F
	v_mul_f32_e32 v31, s47, v31                                // 00000000B7C0: 0A3E3E2F
	v_cmp_u_f32_e64 s[74:75], v30, v30                         // 00000000B7C4: D048004A 00023D1E
	v_bfe_u32 v248, v30, 16, 1                                 // 00000000B7CC: D1C800F8 0205211E
	v_add3_u32 v248, v30, v248, v251                           // 00000000B7D4: D1FF00F8 07EFF11E
	v_cndmask_b32_e64 v28, v248, v250, s[74:75]                // 00000000B7DC: D100001C 012BF5F8
	v_lshrrev_b32_e32 v28, 16, v28                             // 00000000B7E4: 20383890
	v_cmp_u_f32_e64 s[74:75], v31, v31                         // 00000000B7E8: D048004A 00023F1F
	v_bfe_u32 v248, v31, 16, 1                                 // 00000000B7F0: D1C800F8 0205211F
	v_add3_u32 v248, v31, v248, v251                           // 00000000B7F8: D1FF00F8 07EFF11F
	v_cndmask_b32_e64 v29, v248, v250, s[74:75]                // 00000000B800: D100001D 012BF5F8
	v_and_or_b32 v62, v29, v249, v28                           // 00000000B808: D201003E 0473F31D
	v_accvgpr_read_b32 v30, a190                               // 00000000B810: D3D8401E 180001BE
	v_accvgpr_read_b32 v31, a191                               // 00000000B818: D3D8401F 180001BF
	v_mul_f32_e32 v30, s47, v30                                // 00000000B820: 0A3C3C2F
	v_mul_f32_e32 v31, s47, v31                                // 00000000B824: 0A3E3E2F
	v_cmp_u_f32_e64 s[74:75], v30, v30                         // 00000000B828: D048004A 00023D1E
	v_bfe_u32 v248, v30, 16, 1                                 // 00000000B830: D1C800F8 0205211E
	v_add3_u32 v248, v30, v248, v251                           // 00000000B838: D1FF00F8 07EFF11E
	v_cndmask_b32_e64 v28, v248, v250, s[74:75]                // 00000000B840: D100001C 012BF5F8
	v_lshrrev_b32_e32 v28, 16, v28                             // 00000000B848: 20383890
	v_cmp_u_f32_e64 s[74:75], v31, v31                         // 00000000B84C: D048004A 00023F1F
	v_bfe_u32 v248, v31, 16, 1                                 // 00000000B854: D1C800F8 0205211F
	v_add3_u32 v248, v31, v248, v251                           // 00000000B85C: D1FF00F8 07EFF11F
	v_cndmask_b32_e64 v29, v248, v250, s[74:75]                // 00000000B864: D100001D 012BF5F8
	v_and_or_b32 v63, v29, v249, v28                           // 00000000B86C: D201003F 0473F31D
	ds_write_b64 v25, v[48:49]                                 // 00000000B874: D89A0000 00003019
	ds_write_b64 v25, v[50:51] offset:528                      // 00000000B87C: D89A0210 00003219
	ds_write_b64 v25, v[52:53] offset:1056                     // 00000000B884: D89A0420 00003419
	ds_write_b64 v25, v[54:55] offset:1584                     // 00000000B88C: D89A0630 00003619
	ds_write_b64 v25, v[56:57] offset:2112                     // 00000000B894: D89A0840 00003819
	ds_write_b64 v25, v[58:59] offset:2640                     // 00000000B89C: D89A0A50 00003A19
	ds_write_b64 v25, v[60:61] offset:3168                     // 00000000B8A4: D89A0C60 00003C19
	ds_write_b64 v25, v[62:63] offset:3696                     // 00000000B8AC: D89A0E70 00003E19
	s_waitcnt lgkmcnt(0)                                       // 00000000B8B4: BF8CC07F
	s_barrier                                                  // 00000000B8B8: BF8A0000
	ds_read_b64 v[48:49], v24                                  // 00000000B8BC: D8EC0000 30000018
	ds_read_b64 v[50:51], v24 offset:128                       // 00000000B8C4: D8EC0080 32000018
	ds_read_b64 v[52:53], v24 offset:32                        // 00000000B8CC: D8EC0020 34000018
	ds_read_b64 v[54:55], v24 offset:160                       // 00000000B8D4: D8EC00A0 36000018
	ds_read_b64 v[56:57], v24 offset:64                        // 00000000B8DC: D8EC0040 38000018
	ds_read_b64 v[58:59], v24 offset:192                       // 00000000B8E4: D8EC00C0 3A000018
	ds_read_b64 v[60:61], v24 offset:96                        // 00000000B8EC: D8EC0060 3C000018
	ds_read_b64 v[62:63], v24 offset:224                       // 00000000B8F4: D8EC00E0 3E000018
	s_waitcnt lgkmcnt(0)                                       // 00000000B8FC: BF8CC07F
	s_mov_b32 s70, s52                                         // 00000000B900: BEC60034
	s_mov_b64 exec, s[90:91]                                   // 00000000B904: BEFE015A
	buffer_store_dwordx4 v[48:51], v5, s[36:39], 0 idxen       // 00000000B908: E07C2000 80093005
	s_mov_b64 exec, s[86:87]                                   // 00000000B910: BEFE0156
	v_add_u32_e32 v5, s70, v5                                  // 00000000B914: 680A0A46
	s_mov_b64 exec, s[90:91]                                   // 00000000B918: BEFE015A
	buffer_store_dwordx4 v[52:55], v5, s[36:39], 0 idxen       // 00000000B91C: E07C2000 80093405
	s_mov_b64 exec, s[86:87]                                   // 00000000B924: BEFE0156
	v_add_u32_e32 v5, s70, v5                                  // 00000000B928: 680A0A46
	s_mov_b64 exec, s[90:91]                                   // 00000000B92C: BEFE015A
	buffer_store_dwordx4 v[56:59], v5, s[36:39], 0 idxen       // 00000000B930: E07C2000 80093805
	s_mov_b64 exec, s[86:87]                                   // 00000000B938: BEFE0156
	v_add_u32_e32 v5, s70, v5                                  // 00000000B93C: 680A0A46
	s_mov_b64 exec, s[90:91]                                   // 00000000B940: BEFE015A
	buffer_store_dwordx4 v[60:63], v5, s[36:39], 0 idxen       // 00000000B944: E07C2000 80093C05
	s_mov_b64 exec, s[86:87]                                   // 00000000B94C: BEFE0156
	v_add_u32_e32 v5, s70, v5                                  // 00000000B950: 680A0A46
	s_mul_i32 s60, 12, s70                                     // 00000000B954: 923C468C
	v_add_u32_e32 v5, s60, v5                                  // 00000000B958: 680A0A3C
	s_barrier                                                  // 00000000B95C: BF8A0000
	s_cmp_ge_i32 1, s73                                        // 00000000B960: BF034981
	s_cbranch_scc1 label_228C                                  // 00000000B964: BF85039A
	v_accvgpr_read_b32 v30, a192                               // 00000000B968: D3D8401E 180001C0
	v_accvgpr_read_b32 v31, a193                               // 00000000B970: D3D8401F 180001C1
	v_mul_f32_e32 v30, s47, v30                                // 00000000B978: 0A3C3C2F
	v_mul_f32_e32 v31, s47, v31                                // 00000000B97C: 0A3E3E2F
	v_cmp_u_f32_e64 s[74:75], v30, v30                         // 00000000B980: D048004A 00023D1E
	v_bfe_u32 v248, v30, 16, 1                                 // 00000000B988: D1C800F8 0205211E
	v_add3_u32 v248, v30, v248, v251                           // 00000000B990: D1FF00F8 07EFF11E
	v_cndmask_b32_e64 v28, v248, v250, s[74:75]                // 00000000B998: D100001C 012BF5F8
	v_lshrrev_b32_e32 v28, 16, v28                             // 00000000B9A0: 20383890
	v_cmp_u_f32_e64 s[74:75], v31, v31                         // 00000000B9A4: D048004A 00023F1F
	v_bfe_u32 v248, v31, 16, 1                                 // 00000000B9AC: D1C800F8 0205211F
	v_add3_u32 v248, v31, v248, v251                           // 00000000B9B4: D1FF00F8 07EFF11F
	v_cndmask_b32_e64 v29, v248, v250, s[74:75]                // 00000000B9BC: D100001D 012BF5F8
	v_and_or_b32 v64, v29, v249, v28                           // 00000000B9C4: D2010040 0473F31D
	v_accvgpr_read_b32 v30, a194                               // 00000000B9CC: D3D8401E 180001C2
	v_accvgpr_read_b32 v31, a195                               // 00000000B9D4: D3D8401F 180001C3
	v_mul_f32_e32 v30, s47, v30                                // 00000000B9DC: 0A3C3C2F
	v_mul_f32_e32 v31, s47, v31                                // 00000000B9E0: 0A3E3E2F
	v_cmp_u_f32_e64 s[74:75], v30, v30                         // 00000000B9E4: D048004A 00023D1E
	v_bfe_u32 v248, v30, 16, 1                                 // 00000000B9EC: D1C800F8 0205211E
	v_add3_u32 v248, v30, v248, v251                           // 00000000B9F4: D1FF00F8 07EFF11E
	v_cndmask_b32_e64 v28, v248, v250, s[74:75]                // 00000000B9FC: D100001C 012BF5F8
	v_lshrrev_b32_e32 v28, 16, v28                             // 00000000BA04: 20383890
	v_cmp_u_f32_e64 s[74:75], v31, v31                         // 00000000BA08: D048004A 00023F1F
	v_bfe_u32 v248, v31, 16, 1                                 // 00000000BA10: D1C800F8 0205211F
	v_add3_u32 v248, v31, v248, v251                           // 00000000BA18: D1FF00F8 07EFF11F
	v_cndmask_b32_e64 v29, v248, v250, s[74:75]                // 00000000BA20: D100001D 012BF5F8
	v_and_or_b32 v65, v29, v249, v28                           // 00000000BA28: D2010041 0473F31D
	v_accvgpr_read_b32 v30, a196                               // 00000000BA30: D3D8401E 180001C4
	v_accvgpr_read_b32 v31, a197                               // 00000000BA38: D3D8401F 180001C5
	v_mul_f32_e32 v30, s47, v30                                // 00000000BA40: 0A3C3C2F
	v_mul_f32_e32 v31, s47, v31                                // 00000000BA44: 0A3E3E2F
	v_cmp_u_f32_e64 s[74:75], v30, v30                         // 00000000BA48: D048004A 00023D1E
	v_bfe_u32 v248, v30, 16, 1                                 // 00000000BA50: D1C800F8 0205211E
	v_add3_u32 v248, v30, v248, v251                           // 00000000BA58: D1FF00F8 07EFF11E
	v_cndmask_b32_e64 v28, v248, v250, s[74:75]                // 00000000BA60: D100001C 012BF5F8
	v_lshrrev_b32_e32 v28, 16, v28                             // 00000000BA68: 20383890
	v_cmp_u_f32_e64 s[74:75], v31, v31                         // 00000000BA6C: D048004A 00023F1F
	v_bfe_u32 v248, v31, 16, 1                                 // 00000000BA74: D1C800F8 0205211F
	v_add3_u32 v248, v31, v248, v251                           // 00000000BA7C: D1FF00F8 07EFF11F
	v_cndmask_b32_e64 v29, v248, v250, s[74:75]                // 00000000BA84: D100001D 012BF5F8
	v_and_or_b32 v66, v29, v249, v28                           // 00000000BA8C: D2010042 0473F31D
	v_accvgpr_read_b32 v30, a198                               // 00000000BA94: D3D8401E 180001C6
	v_accvgpr_read_b32 v31, a199                               // 00000000BA9C: D3D8401F 180001C7
	v_mul_f32_e32 v30, s47, v30                                // 00000000BAA4: 0A3C3C2F
	v_mul_f32_e32 v31, s47, v31                                // 00000000BAA8: 0A3E3E2F
	v_cmp_u_f32_e64 s[74:75], v30, v30                         // 00000000BAAC: D048004A 00023D1E
	v_bfe_u32 v248, v30, 16, 1                                 // 00000000BAB4: D1C800F8 0205211E
	v_add3_u32 v248, v30, v248, v251                           // 00000000BABC: D1FF00F8 07EFF11E
	v_cndmask_b32_e64 v28, v248, v250, s[74:75]                // 00000000BAC4: D100001C 012BF5F8
	v_lshrrev_b32_e32 v28, 16, v28                             // 00000000BACC: 20383890
	v_cmp_u_f32_e64 s[74:75], v31, v31                         // 00000000BAD0: D048004A 00023F1F
	v_bfe_u32 v248, v31, 16, 1                                 // 00000000BAD8: D1C800F8 0205211F
	v_add3_u32 v248, v31, v248, v251                           // 00000000BAE0: D1FF00F8 07EFF11F
	v_cndmask_b32_e64 v29, v248, v250, s[74:75]                // 00000000BAE8: D100001D 012BF5F8
	v_and_or_b32 v67, v29, v249, v28                           // 00000000BAF0: D2010043 0473F31D
	v_accvgpr_read_b32 v30, a200                               // 00000000BAF8: D3D8401E 180001C8
	v_accvgpr_read_b32 v31, a201                               // 00000000BB00: D3D8401F 180001C9
	v_mul_f32_e32 v30, s47, v30                                // 00000000BB08: 0A3C3C2F
	v_mul_f32_e32 v31, s47, v31                                // 00000000BB0C: 0A3E3E2F
	v_cmp_u_f32_e64 s[74:75], v30, v30                         // 00000000BB10: D048004A 00023D1E
	v_bfe_u32 v248, v30, 16, 1                                 // 00000000BB18: D1C800F8 0205211E
	v_add3_u32 v248, v30, v248, v251                           // 00000000BB20: D1FF00F8 07EFF11E
	v_cndmask_b32_e64 v28, v248, v250, s[74:75]                // 00000000BB28: D100001C 012BF5F8
	v_lshrrev_b32_e32 v28, 16, v28                             // 00000000BB30: 20383890
	v_cmp_u_f32_e64 s[74:75], v31, v31                         // 00000000BB34: D048004A 00023F1F
	v_bfe_u32 v248, v31, 16, 1                                 // 00000000BB3C: D1C800F8 0205211F
	v_add3_u32 v248, v31, v248, v251                           // 00000000BB44: D1FF00F8 07EFF11F
	v_cndmask_b32_e64 v29, v248, v250, s[74:75]                // 00000000BB4C: D100001D 012BF5F8
	v_and_or_b32 v68, v29, v249, v28                           // 00000000BB54: D2010044 0473F31D
	v_accvgpr_read_b32 v30, a202                               // 00000000BB5C: D3D8401E 180001CA
	v_accvgpr_read_b32 v31, a203                               // 00000000BB64: D3D8401F 180001CB
	v_mul_f32_e32 v30, s47, v30                                // 00000000BB6C: 0A3C3C2F
	v_mul_f32_e32 v31, s47, v31                                // 00000000BB70: 0A3E3E2F
	v_cmp_u_f32_e64 s[74:75], v30, v30                         // 00000000BB74: D048004A 00023D1E
	v_bfe_u32 v248, v30, 16, 1                                 // 00000000BB7C: D1C800F8 0205211E
	v_add3_u32 v248, v30, v248, v251                           // 00000000BB84: D1FF00F8 07EFF11E
	v_cndmask_b32_e64 v28, v248, v250, s[74:75]                // 00000000BB8C: D100001C 012BF5F8
	v_lshrrev_b32_e32 v28, 16, v28                             // 00000000BB94: 20383890
	v_cmp_u_f32_e64 s[74:75], v31, v31                         // 00000000BB98: D048004A 00023F1F
	v_bfe_u32 v248, v31, 16, 1                                 // 00000000BBA0: D1C800F8 0205211F
	v_add3_u32 v248, v31, v248, v251                           // 00000000BBA8: D1FF00F8 07EFF11F
	v_cndmask_b32_e64 v29, v248, v250, s[74:75]                // 00000000BBB0: D100001D 012BF5F8
	v_and_or_b32 v69, v29, v249, v28                           // 00000000BBB8: D2010045 0473F31D
	v_accvgpr_read_b32 v30, a204                               // 00000000BBC0: D3D8401E 180001CC
	v_accvgpr_read_b32 v31, a205                               // 00000000BBC8: D3D8401F 180001CD
	v_mul_f32_e32 v30, s47, v30                                // 00000000BBD0: 0A3C3C2F
	v_mul_f32_e32 v31, s47, v31                                // 00000000BBD4: 0A3E3E2F
	v_cmp_u_f32_e64 s[74:75], v30, v30                         // 00000000BBD8: D048004A 00023D1E
	v_bfe_u32 v248, v30, 16, 1                                 // 00000000BBE0: D1C800F8 0205211E
	v_add3_u32 v248, v30, v248, v251                           // 00000000BBE8: D1FF00F8 07EFF11E
	v_cndmask_b32_e64 v28, v248, v250, s[74:75]                // 00000000BBF0: D100001C 012BF5F8
	v_lshrrev_b32_e32 v28, 16, v28                             // 00000000BBF8: 20383890
	v_cmp_u_f32_e64 s[74:75], v31, v31                         // 00000000BBFC: D048004A 00023F1F
	v_bfe_u32 v248, v31, 16, 1                                 // 00000000BC04: D1C800F8 0205211F
	v_add3_u32 v248, v31, v248, v251                           // 00000000BC0C: D1FF00F8 07EFF11F
	v_cndmask_b32_e64 v29, v248, v250, s[74:75]                // 00000000BC14: D100001D 012BF5F8
	v_and_or_b32 v70, v29, v249, v28                           // 00000000BC1C: D2010046 0473F31D
	v_accvgpr_read_b32 v30, a206                               // 00000000BC24: D3D8401E 180001CE
	v_accvgpr_read_b32 v31, a207                               // 00000000BC2C: D3D8401F 180001CF
	v_mul_f32_e32 v30, s47, v30                                // 00000000BC34: 0A3C3C2F
	v_mul_f32_e32 v31, s47, v31                                // 00000000BC38: 0A3E3E2F
	v_cmp_u_f32_e64 s[74:75], v30, v30                         // 00000000BC3C: D048004A 00023D1E
	v_bfe_u32 v248, v30, 16, 1                                 // 00000000BC44: D1C800F8 0205211E
	v_add3_u32 v248, v30, v248, v251                           // 00000000BC4C: D1FF00F8 07EFF11E
	v_cndmask_b32_e64 v28, v248, v250, s[74:75]                // 00000000BC54: D100001C 012BF5F8
	v_lshrrev_b32_e32 v28, 16, v28                             // 00000000BC5C: 20383890
	v_cmp_u_f32_e64 s[74:75], v31, v31                         // 00000000BC60: D048004A 00023F1F
	v_bfe_u32 v248, v31, 16, 1                                 // 00000000BC68: D1C800F8 0205211F
	v_add3_u32 v248, v31, v248, v251                           // 00000000BC70: D1FF00F8 07EFF11F
	v_cndmask_b32_e64 v29, v248, v250, s[74:75]                // 00000000BC78: D100001D 012BF5F8
	v_and_or_b32 v71, v29, v249, v28                           // 00000000BC80: D2010047 0473F31D
	v_accvgpr_read_b32 v30, a208                               // 00000000BC88: D3D8401E 180001D0
	v_accvgpr_read_b32 v31, a209                               // 00000000BC90: D3D8401F 180001D1
	v_mul_f32_e32 v30, s47, v30                                // 00000000BC98: 0A3C3C2F
	v_mul_f32_e32 v31, s47, v31                                // 00000000BC9C: 0A3E3E2F
	v_cmp_u_f32_e64 s[74:75], v30, v30                         // 00000000BCA0: D048004A 00023D1E
	v_bfe_u32 v248, v30, 16, 1                                 // 00000000BCA8: D1C800F8 0205211E
	v_add3_u32 v248, v30, v248, v251                           // 00000000BCB0: D1FF00F8 07EFF11E
	v_cndmask_b32_e64 v28, v248, v250, s[74:75]                // 00000000BCB8: D100001C 012BF5F8
	v_lshrrev_b32_e32 v28, 16, v28                             // 00000000BCC0: 20383890
	v_cmp_u_f32_e64 s[74:75], v31, v31                         // 00000000BCC4: D048004A 00023F1F
	v_bfe_u32 v248, v31, 16, 1                                 // 00000000BCCC: D1C800F8 0205211F
	v_add3_u32 v248, v31, v248, v251                           // 00000000BCD4: D1FF00F8 07EFF11F
	v_cndmask_b32_e64 v29, v248, v250, s[74:75]                // 00000000BCDC: D100001D 012BF5F8
	v_and_or_b32 v72, v29, v249, v28                           // 00000000BCE4: D2010048 0473F31D
	v_accvgpr_read_b32 v30, a210                               // 00000000BCEC: D3D8401E 180001D2
	v_accvgpr_read_b32 v31, a211                               // 00000000BCF4: D3D8401F 180001D3
	v_mul_f32_e32 v30, s47, v30                                // 00000000BCFC: 0A3C3C2F
	v_mul_f32_e32 v31, s47, v31                                // 00000000BD00: 0A3E3E2F
	v_cmp_u_f32_e64 s[74:75], v30, v30                         // 00000000BD04: D048004A 00023D1E
	v_bfe_u32 v248, v30, 16, 1                                 // 00000000BD0C: D1C800F8 0205211E
	v_add3_u32 v248, v30, v248, v251                           // 00000000BD14: D1FF00F8 07EFF11E
	v_cndmask_b32_e64 v28, v248, v250, s[74:75]                // 00000000BD1C: D100001C 012BF5F8
	v_lshrrev_b32_e32 v28, 16, v28                             // 00000000BD24: 20383890
	v_cmp_u_f32_e64 s[74:75], v31, v31                         // 00000000BD28: D048004A 00023F1F
	v_bfe_u32 v248, v31, 16, 1                                 // 00000000BD30: D1C800F8 0205211F
	v_add3_u32 v248, v31, v248, v251                           // 00000000BD38: D1FF00F8 07EFF11F
	v_cndmask_b32_e64 v29, v248, v250, s[74:75]                // 00000000BD40: D100001D 012BF5F8
	v_and_or_b32 v73, v29, v249, v28                           // 00000000BD48: D2010049 0473F31D
	v_accvgpr_read_b32 v30, a212                               // 00000000BD50: D3D8401E 180001D4
	v_accvgpr_read_b32 v31, a213                               // 00000000BD58: D3D8401F 180001D5
	v_mul_f32_e32 v30, s47, v30                                // 00000000BD60: 0A3C3C2F
	v_mul_f32_e32 v31, s47, v31                                // 00000000BD64: 0A3E3E2F
	v_cmp_u_f32_e64 s[74:75], v30, v30                         // 00000000BD68: D048004A 00023D1E
	v_bfe_u32 v248, v30, 16, 1                                 // 00000000BD70: D1C800F8 0205211E
	v_add3_u32 v248, v30, v248, v251                           // 00000000BD78: D1FF00F8 07EFF11E
	v_cndmask_b32_e64 v28, v248, v250, s[74:75]                // 00000000BD80: D100001C 012BF5F8
	v_lshrrev_b32_e32 v28, 16, v28                             // 00000000BD88: 20383890
	v_cmp_u_f32_e64 s[74:75], v31, v31                         // 00000000BD8C: D048004A 00023F1F
	v_bfe_u32 v248, v31, 16, 1                                 // 00000000BD94: D1C800F8 0205211F
	v_add3_u32 v248, v31, v248, v251                           // 00000000BD9C: D1FF00F8 07EFF11F
	v_cndmask_b32_e64 v29, v248, v250, s[74:75]                // 00000000BDA4: D100001D 012BF5F8
	v_and_or_b32 v74, v29, v249, v28                           // 00000000BDAC: D201004A 0473F31D
	v_accvgpr_read_b32 v30, a214                               // 00000000BDB4: D3D8401E 180001D6
	v_accvgpr_read_b32 v31, a215                               // 00000000BDBC: D3D8401F 180001D7
	v_mul_f32_e32 v30, s47, v30                                // 00000000BDC4: 0A3C3C2F
	v_mul_f32_e32 v31, s47, v31                                // 00000000BDC8: 0A3E3E2F
	v_cmp_u_f32_e64 s[74:75], v30, v30                         // 00000000BDCC: D048004A 00023D1E
	v_bfe_u32 v248, v30, 16, 1                                 // 00000000BDD4: D1C800F8 0205211E
	v_add3_u32 v248, v30, v248, v251                           // 00000000BDDC: D1FF00F8 07EFF11E
	v_cndmask_b32_e64 v28, v248, v250, s[74:75]                // 00000000BDE4: D100001C 012BF5F8
	v_lshrrev_b32_e32 v28, 16, v28                             // 00000000BDEC: 20383890
	v_cmp_u_f32_e64 s[74:75], v31, v31                         // 00000000BDF0: D048004A 00023F1F
	v_bfe_u32 v248, v31, 16, 1                                 // 00000000BDF8: D1C800F8 0205211F
	v_add3_u32 v248, v31, v248, v251                           // 00000000BE00: D1FF00F8 07EFF11F
	v_cndmask_b32_e64 v29, v248, v250, s[74:75]                // 00000000BE08: D100001D 012BF5F8
	v_and_or_b32 v75, v29, v249, v28                           // 00000000BE10: D201004B 0473F31D
	v_accvgpr_read_b32 v30, a216                               // 00000000BE18: D3D8401E 180001D8
	v_accvgpr_read_b32 v31, a217                               // 00000000BE20: D3D8401F 180001D9
	v_mul_f32_e32 v30, s47, v30                                // 00000000BE28: 0A3C3C2F
	v_mul_f32_e32 v31, s47, v31                                // 00000000BE2C: 0A3E3E2F
	v_cmp_u_f32_e64 s[74:75], v30, v30                         // 00000000BE30: D048004A 00023D1E
	v_bfe_u32 v248, v30, 16, 1                                 // 00000000BE38: D1C800F8 0205211E
	v_add3_u32 v248, v30, v248, v251                           // 00000000BE40: D1FF00F8 07EFF11E
	v_cndmask_b32_e64 v28, v248, v250, s[74:75]                // 00000000BE48: D100001C 012BF5F8
	v_lshrrev_b32_e32 v28, 16, v28                             // 00000000BE50: 20383890
	v_cmp_u_f32_e64 s[74:75], v31, v31                         // 00000000BE54: D048004A 00023F1F
	v_bfe_u32 v248, v31, 16, 1                                 // 00000000BE5C: D1C800F8 0205211F
	v_add3_u32 v248, v31, v248, v251                           // 00000000BE64: D1FF00F8 07EFF11F
	v_cndmask_b32_e64 v29, v248, v250, s[74:75]                // 00000000BE6C: D100001D 012BF5F8
	v_and_or_b32 v76, v29, v249, v28                           // 00000000BE74: D201004C 0473F31D
	v_accvgpr_read_b32 v30, a218                               // 00000000BE7C: D3D8401E 180001DA
	v_accvgpr_read_b32 v31, a219                               // 00000000BE84: D3D8401F 180001DB
	v_mul_f32_e32 v30, s47, v30                                // 00000000BE8C: 0A3C3C2F
	v_mul_f32_e32 v31, s47, v31                                // 00000000BE90: 0A3E3E2F
	v_cmp_u_f32_e64 s[74:75], v30, v30                         // 00000000BE94: D048004A 00023D1E
	v_bfe_u32 v248, v30, 16, 1                                 // 00000000BE9C: D1C800F8 0205211E
	v_add3_u32 v248, v30, v248, v251                           // 00000000BEA4: D1FF00F8 07EFF11E
	v_cndmask_b32_e64 v28, v248, v250, s[74:75]                // 00000000BEAC: D100001C 012BF5F8
	v_lshrrev_b32_e32 v28, 16, v28                             // 00000000BEB4: 20383890
	v_cmp_u_f32_e64 s[74:75], v31, v31                         // 00000000BEB8: D048004A 00023F1F
	v_bfe_u32 v248, v31, 16, 1                                 // 00000000BEC0: D1C800F8 0205211F
	v_add3_u32 v248, v31, v248, v251                           // 00000000BEC8: D1FF00F8 07EFF11F
	v_cndmask_b32_e64 v29, v248, v250, s[74:75]                // 00000000BED0: D100001D 012BF5F8
	v_and_or_b32 v77, v29, v249, v28                           // 00000000BED8: D201004D 0473F31D
	v_accvgpr_read_b32 v30, a220                               // 00000000BEE0: D3D8401E 180001DC
	v_accvgpr_read_b32 v31, a221                               // 00000000BEE8: D3D8401F 180001DD
	v_mul_f32_e32 v30, s47, v30                                // 00000000BEF0: 0A3C3C2F
	v_mul_f32_e32 v31, s47, v31                                // 00000000BEF4: 0A3E3E2F
	v_cmp_u_f32_e64 s[74:75], v30, v30                         // 00000000BEF8: D048004A 00023D1E
	v_bfe_u32 v248, v30, 16, 1                                 // 00000000BF00: D1C800F8 0205211E
	v_add3_u32 v248, v30, v248, v251                           // 00000000BF08: D1FF00F8 07EFF11E
	v_cndmask_b32_e64 v28, v248, v250, s[74:75]                // 00000000BF10: D100001C 012BF5F8
	v_lshrrev_b32_e32 v28, 16, v28                             // 00000000BF18: 20383890
	v_cmp_u_f32_e64 s[74:75], v31, v31                         // 00000000BF1C: D048004A 00023F1F
	v_bfe_u32 v248, v31, 16, 1                                 // 00000000BF24: D1C800F8 0205211F
	v_add3_u32 v248, v31, v248, v251                           // 00000000BF2C: D1FF00F8 07EFF11F
	v_cndmask_b32_e64 v29, v248, v250, s[74:75]                // 00000000BF34: D100001D 012BF5F8
	v_and_or_b32 v78, v29, v249, v28                           // 00000000BF3C: D201004E 0473F31D
	v_accvgpr_read_b32 v30, a222                               // 00000000BF44: D3D8401E 180001DE
	v_accvgpr_read_b32 v31, a223                               // 00000000BF4C: D3D8401F 180001DF
	v_mul_f32_e32 v30, s47, v30                                // 00000000BF54: 0A3C3C2F
	v_mul_f32_e32 v31, s47, v31                                // 00000000BF58: 0A3E3E2F
	v_cmp_u_f32_e64 s[74:75], v30, v30                         // 00000000BF5C: D048004A 00023D1E
	v_bfe_u32 v248, v30, 16, 1                                 // 00000000BF64: D1C800F8 0205211E
	v_add3_u32 v248, v30, v248, v251                           // 00000000BF6C: D1FF00F8 07EFF11E
	v_cndmask_b32_e64 v28, v248, v250, s[74:75]                // 00000000BF74: D100001C 012BF5F8
	v_lshrrev_b32_e32 v28, 16, v28                             // 00000000BF7C: 20383890
	v_cmp_u_f32_e64 s[74:75], v31, v31                         // 00000000BF80: D048004A 00023F1F
	v_bfe_u32 v248, v31, 16, 1                                 // 00000000BF88: D1C800F8 0205211F
	v_add3_u32 v248, v31, v248, v251                           // 00000000BF90: D1FF00F8 07EFF11F
	v_cndmask_b32_e64 v29, v248, v250, s[74:75]                // 00000000BF98: D100001D 012BF5F8
	v_and_or_b32 v79, v29, v249, v28                           // 00000000BFA0: D201004F 0473F31D
	ds_write_b64 v25, v[64:65] offset:16896                    // 00000000BFA8: D89A4200 00004019
	ds_write_b64 v25, v[66:67] offset:17424                    // 00000000BFB0: D89A4410 00004219
	ds_write_b64 v25, v[68:69] offset:17952                    // 00000000BFB8: D89A4620 00004419
	ds_write_b64 v25, v[70:71] offset:18480                    // 00000000BFC0: D89A4830 00004619
	ds_write_b64 v25, v[72:73] offset:19008                    // 00000000BFC8: D89A4A40 00004819
	ds_write_b64 v25, v[74:75] offset:19536                    // 00000000BFD0: D89A4C50 00004A19
	ds_write_b64 v25, v[76:77] offset:20064                    // 00000000BFD8: D89A4E60 00004C19
	ds_write_b64 v25, v[78:79] offset:20592                    // 00000000BFE0: D89A5070 00004E19
	s_waitcnt lgkmcnt(0)                                       // 00000000BFE8: BF8CC07F
	s_barrier                                                  // 00000000BFEC: BF8A0000
	ds_read_b64 v[64:65], v24 offset:16896                     // 00000000BFF0: D8EC4200 40000018
	ds_read_b64 v[66:67], v24 offset:17024                     // 00000000BFF8: D8EC4280 42000018
	ds_read_b64 v[68:69], v24 offset:16928                     // 00000000C000: D8EC4220 44000018
	ds_read_b64 v[70:71], v24 offset:17056                     // 00000000C008: D8EC42A0 46000018
	ds_read_b64 v[72:73], v24 offset:16960                     // 00000000C010: D8EC4240 48000018
	ds_read_b64 v[74:75], v24 offset:17088                     // 00000000C018: D8EC42C0 4A000018
	ds_read_b64 v[76:77], v24 offset:16992                     // 00000000C020: D8EC4260 4C000018
	ds_read_b64 v[78:79], v24 offset:17120                     // 00000000C028: D8EC42E0 4E000018
	s_waitcnt lgkmcnt(0)                                       // 00000000C030: BF8CC07F
	s_mov_b32 s70, s52                                         // 00000000C034: BEC60034
	s_mov_b64 exec, s[90:91]                                   // 00000000C038: BEFE015A
	buffer_store_dwordx4 v[64:67], v5, s[36:39], 0 idxen       // 00000000C03C: E07C2000 80094005
	s_mov_b64 exec, s[86:87]                                   // 00000000C044: BEFE0156
	v_add_u32_e32 v5, s70, v5                                  // 00000000C048: 680A0A46
	s_mov_b64 exec, s[90:91]                                   // 00000000C04C: BEFE015A
	buffer_store_dwordx4 v[68:71], v5, s[36:39], 0 idxen       // 00000000C050: E07C2000 80094405
	s_mov_b64 exec, s[86:87]                                   // 00000000C058: BEFE0156
	v_add_u32_e32 v5, s70, v5                                  // 00000000C05C: 680A0A46
	s_mov_b64 exec, s[90:91]                                   // 00000000C060: BEFE015A
	buffer_store_dwordx4 v[72:75], v5, s[36:39], 0 idxen       // 00000000C064: E07C2000 80094805
	s_mov_b64 exec, s[86:87]                                   // 00000000C06C: BEFE0156
	v_add_u32_e32 v5, s70, v5                                  // 00000000C070: 680A0A46
	s_mov_b64 exec, s[90:91]                                   // 00000000C074: BEFE015A
	buffer_store_dwordx4 v[76:79], v5, s[36:39], 0 idxen       // 00000000C078: E07C2000 80094C05
	s_mov_b64 exec, s[86:87]                                   // 00000000C080: BEFE0156
	v_add_u32_e32 v5, s70, v5                                  // 00000000C084: 680A0A46
	s_mul_i32 s60, 12, s70                                     // 00000000C088: 923C468C
	v_add_u32_e32 v5, s60, v5                                  // 00000000C08C: 680A0A3C
	s_barrier                                                  // 00000000C090: BF8A0000
	s_cmp_ge_i32 2, s73                                        // 00000000C094: BF034982
	s_cbranch_scc1 label_228C                                  // 00000000C098: BF8501CD
	v_accvgpr_read_b32 v30, a224                               // 00000000C09C: D3D8401E 180001E0
	v_accvgpr_read_b32 v31, a225                               // 00000000C0A4: D3D8401F 180001E1
	v_mul_f32_e32 v30, s47, v30                                // 00000000C0AC: 0A3C3C2F
	v_mul_f32_e32 v31, s47, v31                                // 00000000C0B0: 0A3E3E2F
	v_cmp_u_f32_e64 s[74:75], v30, v30                         // 00000000C0B4: D048004A 00023D1E
	v_bfe_u32 v248, v30, 16, 1                                 // 00000000C0BC: D1C800F8 0205211E
	v_add3_u32 v248, v30, v248, v251                           // 00000000C0C4: D1FF00F8 07EFF11E
	v_cndmask_b32_e64 v28, v248, v250, s[74:75]                // 00000000C0CC: D100001C 012BF5F8
	v_lshrrev_b32_e32 v28, 16, v28                             // 00000000C0D4: 20383890
	v_cmp_u_f32_e64 s[74:75], v31, v31                         // 00000000C0D8: D048004A 00023F1F
	v_bfe_u32 v248, v31, 16, 1                                 // 00000000C0E0: D1C800F8 0205211F
	v_add3_u32 v248, v31, v248, v251                           // 00000000C0E8: D1FF00F8 07EFF11F
	v_cndmask_b32_e64 v29, v248, v250, s[74:75]                // 00000000C0F0: D100001D 012BF5F8
	v_and_or_b32 v80, v29, v249, v28                           // 00000000C0F8: D2010050 0473F31D
	v_accvgpr_read_b32 v30, a226                               // 00000000C100: D3D8401E 180001E2
	v_accvgpr_read_b32 v31, a227                               // 00000000C108: D3D8401F 180001E3
	v_mul_f32_e32 v30, s47, v30                                // 00000000C110: 0A3C3C2F
	v_mul_f32_e32 v31, s47, v31                                // 00000000C114: 0A3E3E2F
	v_cmp_u_f32_e64 s[74:75], v30, v30                         // 00000000C118: D048004A 00023D1E
	v_bfe_u32 v248, v30, 16, 1                                 // 00000000C120: D1C800F8 0205211E
	v_add3_u32 v248, v30, v248, v251                           // 00000000C128: D1FF00F8 07EFF11E
	v_cndmask_b32_e64 v28, v248, v250, s[74:75]                // 00000000C130: D100001C 012BF5F8
	v_lshrrev_b32_e32 v28, 16, v28                             // 00000000C138: 20383890
	v_cmp_u_f32_e64 s[74:75], v31, v31                         // 00000000C13C: D048004A 00023F1F
	v_bfe_u32 v248, v31, 16, 1                                 // 00000000C144: D1C800F8 0205211F
	v_add3_u32 v248, v31, v248, v251                           // 00000000C14C: D1FF00F8 07EFF11F
	v_cndmask_b32_e64 v29, v248, v250, s[74:75]                // 00000000C154: D100001D 012BF5F8
	v_and_or_b32 v81, v29, v249, v28                           // 00000000C15C: D2010051 0473F31D
	v_accvgpr_read_b32 v30, a228                               // 00000000C164: D3D8401E 180001E4
	v_accvgpr_read_b32 v31, a229                               // 00000000C16C: D3D8401F 180001E5
	v_mul_f32_e32 v30, s47, v30                                // 00000000C174: 0A3C3C2F
	v_mul_f32_e32 v31, s47, v31                                // 00000000C178: 0A3E3E2F
	v_cmp_u_f32_e64 s[74:75], v30, v30                         // 00000000C17C: D048004A 00023D1E
	v_bfe_u32 v248, v30, 16, 1                                 // 00000000C184: D1C800F8 0205211E
	v_add3_u32 v248, v30, v248, v251                           // 00000000C18C: D1FF00F8 07EFF11E
	v_cndmask_b32_e64 v28, v248, v250, s[74:75]                // 00000000C194: D100001C 012BF5F8
	v_lshrrev_b32_e32 v28, 16, v28                             // 00000000C19C: 20383890
	v_cmp_u_f32_e64 s[74:75], v31, v31                         // 00000000C1A0: D048004A 00023F1F
	v_bfe_u32 v248, v31, 16, 1                                 // 00000000C1A8: D1C800F8 0205211F
	v_add3_u32 v248, v31, v248, v251                           // 00000000C1B0: D1FF00F8 07EFF11F
	v_cndmask_b32_e64 v29, v248, v250, s[74:75]                // 00000000C1B8: D100001D 012BF5F8
	v_and_or_b32 v82, v29, v249, v28                           // 00000000C1C0: D2010052 0473F31D
	v_accvgpr_read_b32 v30, a230                               // 00000000C1C8: D3D8401E 180001E6
	v_accvgpr_read_b32 v31, a231                               // 00000000C1D0: D3D8401F 180001E7
	v_mul_f32_e32 v30, s47, v30                                // 00000000C1D8: 0A3C3C2F
	v_mul_f32_e32 v31, s47, v31                                // 00000000C1DC: 0A3E3E2F
	v_cmp_u_f32_e64 s[74:75], v30, v30                         // 00000000C1E0: D048004A 00023D1E
	v_bfe_u32 v248, v30, 16, 1                                 // 00000000C1E8: D1C800F8 0205211E
	v_add3_u32 v248, v30, v248, v251                           // 00000000C1F0: D1FF00F8 07EFF11E
	v_cndmask_b32_e64 v28, v248, v250, s[74:75]                // 00000000C1F8: D100001C 012BF5F8
	v_lshrrev_b32_e32 v28, 16, v28                             // 00000000C200: 20383890
	v_cmp_u_f32_e64 s[74:75], v31, v31                         // 00000000C204: D048004A 00023F1F
	v_bfe_u32 v248, v31, 16, 1                                 // 00000000C20C: D1C800F8 0205211F
	v_add3_u32 v248, v31, v248, v251                           // 00000000C214: D1FF00F8 07EFF11F
	v_cndmask_b32_e64 v29, v248, v250, s[74:75]                // 00000000C21C: D100001D 012BF5F8
	v_and_or_b32 v83, v29, v249, v28                           // 00000000C224: D2010053 0473F31D
	v_accvgpr_read_b32 v30, a232                               // 00000000C22C: D3D8401E 180001E8
	v_accvgpr_read_b32 v31, a233                               // 00000000C234: D3D8401F 180001E9
	v_mul_f32_e32 v30, s47, v30                                // 00000000C23C: 0A3C3C2F
	v_mul_f32_e32 v31, s47, v31                                // 00000000C240: 0A3E3E2F
	v_cmp_u_f32_e64 s[74:75], v30, v30                         // 00000000C244: D048004A 00023D1E
	v_bfe_u32 v248, v30, 16, 1                                 // 00000000C24C: D1C800F8 0205211E
	v_add3_u32 v248, v30, v248, v251                           // 00000000C254: D1FF00F8 07EFF11E
	v_cndmask_b32_e64 v28, v248, v250, s[74:75]                // 00000000C25C: D100001C 012BF5F8
	v_lshrrev_b32_e32 v28, 16, v28                             // 00000000C264: 20383890
	v_cmp_u_f32_e64 s[74:75], v31, v31                         // 00000000C268: D048004A 00023F1F
	v_bfe_u32 v248, v31, 16, 1                                 // 00000000C270: D1C800F8 0205211F
	v_add3_u32 v248, v31, v248, v251                           // 00000000C278: D1FF00F8 07EFF11F
	v_cndmask_b32_e64 v29, v248, v250, s[74:75]                // 00000000C280: D100001D 012BF5F8
	v_and_or_b32 v84, v29, v249, v28                           // 00000000C288: D2010054 0473F31D
	v_accvgpr_read_b32 v30, a234                               // 00000000C290: D3D8401E 180001EA
	v_accvgpr_read_b32 v31, a235                               // 00000000C298: D3D8401F 180001EB
	v_mul_f32_e32 v30, s47, v30                                // 00000000C2A0: 0A3C3C2F
	v_mul_f32_e32 v31, s47, v31                                // 00000000C2A4: 0A3E3E2F
	v_cmp_u_f32_e64 s[74:75], v30, v30                         // 00000000C2A8: D048004A 00023D1E
	v_bfe_u32 v248, v30, 16, 1                                 // 00000000C2B0: D1C800F8 0205211E
	v_add3_u32 v248, v30, v248, v251                           // 00000000C2B8: D1FF00F8 07EFF11E
	v_cndmask_b32_e64 v28, v248, v250, s[74:75]                // 00000000C2C0: D100001C 012BF5F8
	v_lshrrev_b32_e32 v28, 16, v28                             // 00000000C2C8: 20383890
	v_cmp_u_f32_e64 s[74:75], v31, v31                         // 00000000C2CC: D048004A 00023F1F
	v_bfe_u32 v248, v31, 16, 1                                 // 00000000C2D4: D1C800F8 0205211F
	v_add3_u32 v248, v31, v248, v251                           // 00000000C2DC: D1FF00F8 07EFF11F
	v_cndmask_b32_e64 v29, v248, v250, s[74:75]                // 00000000C2E4: D100001D 012BF5F8
	v_and_or_b32 v85, v29, v249, v28                           // 00000000C2EC: D2010055 0473F31D
	v_accvgpr_read_b32 v30, a236                               // 00000000C2F4: D3D8401E 180001EC
	v_accvgpr_read_b32 v31, a237                               // 00000000C2FC: D3D8401F 180001ED
	v_mul_f32_e32 v30, s47, v30                                // 00000000C304: 0A3C3C2F
	v_mul_f32_e32 v31, s47, v31                                // 00000000C308: 0A3E3E2F
	v_cmp_u_f32_e64 s[74:75], v30, v30                         // 00000000C30C: D048004A 00023D1E
	v_bfe_u32 v248, v30, 16, 1                                 // 00000000C314: D1C800F8 0205211E
	v_add3_u32 v248, v30, v248, v251                           // 00000000C31C: D1FF00F8 07EFF11E
	v_cndmask_b32_e64 v28, v248, v250, s[74:75]                // 00000000C324: D100001C 012BF5F8
	v_lshrrev_b32_e32 v28, 16, v28                             // 00000000C32C: 20383890
	v_cmp_u_f32_e64 s[74:75], v31, v31                         // 00000000C330: D048004A 00023F1F
	v_bfe_u32 v248, v31, 16, 1                                 // 00000000C338: D1C800F8 0205211F
	v_add3_u32 v248, v31, v248, v251                           // 00000000C340: D1FF00F8 07EFF11F
	v_cndmask_b32_e64 v29, v248, v250, s[74:75]                // 00000000C348: D100001D 012BF5F8
	v_and_or_b32 v86, v29, v249, v28                           // 00000000C350: D2010056 0473F31D
	v_accvgpr_read_b32 v30, a238                               // 00000000C358: D3D8401E 180001EE
	v_accvgpr_read_b32 v31, a239                               // 00000000C360: D3D8401F 180001EF
	v_mul_f32_e32 v30, s47, v30                                // 00000000C368: 0A3C3C2F
	v_mul_f32_e32 v31, s47, v31                                // 00000000C36C: 0A3E3E2F
	v_cmp_u_f32_e64 s[74:75], v30, v30                         // 00000000C370: D048004A 00023D1E
	v_bfe_u32 v248, v30, 16, 1                                 // 00000000C378: D1C800F8 0205211E
	v_add3_u32 v248, v30, v248, v251                           // 00000000C380: D1FF00F8 07EFF11E
	v_cndmask_b32_e64 v28, v248, v250, s[74:75]                // 00000000C388: D100001C 012BF5F8
	v_lshrrev_b32_e32 v28, 16, v28                             // 00000000C390: 20383890
	v_cmp_u_f32_e64 s[74:75], v31, v31                         // 00000000C394: D048004A 00023F1F
	v_bfe_u32 v248, v31, 16, 1                                 // 00000000C39C: D1C800F8 0205211F
	v_add3_u32 v248, v31, v248, v251                           // 00000000C3A4: D1FF00F8 07EFF11F
	v_cndmask_b32_e64 v29, v248, v250, s[74:75]                // 00000000C3AC: D100001D 012BF5F8
	v_and_or_b32 v87, v29, v249, v28                           // 00000000C3B4: D2010057 0473F31D
	v_accvgpr_read_b32 v30, a240                               // 00000000C3BC: D3D8401E 180001F0
	v_accvgpr_read_b32 v31, a241                               // 00000000C3C4: D3D8401F 180001F1
	v_mul_f32_e32 v30, s47, v30                                // 00000000C3CC: 0A3C3C2F
	v_mul_f32_e32 v31, s47, v31                                // 00000000C3D0: 0A3E3E2F
	v_cmp_u_f32_e64 s[74:75], v30, v30                         // 00000000C3D4: D048004A 00023D1E
	v_bfe_u32 v248, v30, 16, 1                                 // 00000000C3DC: D1C800F8 0205211E
	v_add3_u32 v248, v30, v248, v251                           // 00000000C3E4: D1FF00F8 07EFF11E
	v_cndmask_b32_e64 v28, v248, v250, s[74:75]                // 00000000C3EC: D100001C 012BF5F8
	v_lshrrev_b32_e32 v28, 16, v28                             // 00000000C3F4: 20383890
	v_cmp_u_f32_e64 s[74:75], v31, v31                         // 00000000C3F8: D048004A 00023F1F
	v_bfe_u32 v248, v31, 16, 1                                 // 00000000C400: D1C800F8 0205211F
	v_add3_u32 v248, v31, v248, v251                           // 00000000C408: D1FF00F8 07EFF11F
	v_cndmask_b32_e64 v29, v248, v250, s[74:75]                // 00000000C410: D100001D 012BF5F8
	v_and_or_b32 v88, v29, v249, v28                           // 00000000C418: D2010058 0473F31D
	v_accvgpr_read_b32 v30, a242                               // 00000000C420: D3D8401E 180001F2
	v_accvgpr_read_b32 v31, a243                               // 00000000C428: D3D8401F 180001F3
	v_mul_f32_e32 v30, s47, v30                                // 00000000C430: 0A3C3C2F
	v_mul_f32_e32 v31, s47, v31                                // 00000000C434: 0A3E3E2F
	v_cmp_u_f32_e64 s[74:75], v30, v30                         // 00000000C438: D048004A 00023D1E
	v_bfe_u32 v248, v30, 16, 1                                 // 00000000C440: D1C800F8 0205211E
	v_add3_u32 v248, v30, v248, v251                           // 00000000C448: D1FF00F8 07EFF11E
	v_cndmask_b32_e64 v28, v248, v250, s[74:75]                // 00000000C450: D100001C 012BF5F8
	v_lshrrev_b32_e32 v28, 16, v28                             // 00000000C458: 20383890
	v_cmp_u_f32_e64 s[74:75], v31, v31                         // 00000000C45C: D048004A 00023F1F
	v_bfe_u32 v248, v31, 16, 1                                 // 00000000C464: D1C800F8 0205211F
	v_add3_u32 v248, v31, v248, v251                           // 00000000C46C: D1FF00F8 07EFF11F
	v_cndmask_b32_e64 v29, v248, v250, s[74:75]                // 00000000C474: D100001D 012BF5F8
	v_and_or_b32 v89, v29, v249, v28                           // 00000000C47C: D2010059 0473F31D
	v_accvgpr_read_b32 v30, a244                               // 00000000C484: D3D8401E 180001F4
	v_accvgpr_read_b32 v31, a245                               // 00000000C48C: D3D8401F 180001F5
	v_mul_f32_e32 v30, s47, v30                                // 00000000C494: 0A3C3C2F
	v_mul_f32_e32 v31, s47, v31                                // 00000000C498: 0A3E3E2F
	v_cmp_u_f32_e64 s[74:75], v30, v30                         // 00000000C49C: D048004A 00023D1E
	v_bfe_u32 v248, v30, 16, 1                                 // 00000000C4A4: D1C800F8 0205211E
	v_add3_u32 v248, v30, v248, v251                           // 00000000C4AC: D1FF00F8 07EFF11E
	v_cndmask_b32_e64 v28, v248, v250, s[74:75]                // 00000000C4B4: D100001C 012BF5F8
	v_lshrrev_b32_e32 v28, 16, v28                             // 00000000C4BC: 20383890
	v_cmp_u_f32_e64 s[74:75], v31, v31                         // 00000000C4C0: D048004A 00023F1F
	v_bfe_u32 v248, v31, 16, 1                                 // 00000000C4C8: D1C800F8 0205211F
	v_add3_u32 v248, v31, v248, v251                           // 00000000C4D0: D1FF00F8 07EFF11F
	v_cndmask_b32_e64 v29, v248, v250, s[74:75]                // 00000000C4D8: D100001D 012BF5F8
	v_and_or_b32 v90, v29, v249, v28                           // 00000000C4E0: D201005A 0473F31D
	v_accvgpr_read_b32 v30, a246                               // 00000000C4E8: D3D8401E 180001F6
	v_accvgpr_read_b32 v31, a247                               // 00000000C4F0: D3D8401F 180001F7
	v_mul_f32_e32 v30, s47, v30                                // 00000000C4F8: 0A3C3C2F
	v_mul_f32_e32 v31, s47, v31                                // 00000000C4FC: 0A3E3E2F
	v_cmp_u_f32_e64 s[74:75], v30, v30                         // 00000000C500: D048004A 00023D1E
	v_bfe_u32 v248, v30, 16, 1                                 // 00000000C508: D1C800F8 0205211E
	v_add3_u32 v248, v30, v248, v251                           // 00000000C510: D1FF00F8 07EFF11E
	v_cndmask_b32_e64 v28, v248, v250, s[74:75]                // 00000000C518: D100001C 012BF5F8
	v_lshrrev_b32_e32 v28, 16, v28                             // 00000000C520: 20383890
	v_cmp_u_f32_e64 s[74:75], v31, v31                         // 00000000C524: D048004A 00023F1F
	v_bfe_u32 v248, v31, 16, 1                                 // 00000000C52C: D1C800F8 0205211F
	v_add3_u32 v248, v31, v248, v251                           // 00000000C534: D1FF00F8 07EFF11F
	v_cndmask_b32_e64 v29, v248, v250, s[74:75]                // 00000000C53C: D100001D 012BF5F8
	v_and_or_b32 v91, v29, v249, v28                           // 00000000C544: D201005B 0473F31D
	v_accvgpr_read_b32 v30, a248                               // 00000000C54C: D3D8401E 180001F8
	v_accvgpr_read_b32 v31, a249                               // 00000000C554: D3D8401F 180001F9
	v_mul_f32_e32 v30, s47, v30                                // 00000000C55C: 0A3C3C2F
	v_mul_f32_e32 v31, s47, v31                                // 00000000C560: 0A3E3E2F
	v_cmp_u_f32_e64 s[74:75], v30, v30                         // 00000000C564: D048004A 00023D1E
	v_bfe_u32 v248, v30, 16, 1                                 // 00000000C56C: D1C800F8 0205211E
	v_add3_u32 v248, v30, v248, v251                           // 00000000C574: D1FF00F8 07EFF11E
	v_cndmask_b32_e64 v28, v248, v250, s[74:75]                // 00000000C57C: D100001C 012BF5F8
	v_lshrrev_b32_e32 v28, 16, v28                             // 00000000C584: 20383890
	v_cmp_u_f32_e64 s[74:75], v31, v31                         // 00000000C588: D048004A 00023F1F
	v_bfe_u32 v248, v31, 16, 1                                 // 00000000C590: D1C800F8 0205211F
	v_add3_u32 v248, v31, v248, v251                           // 00000000C598: D1FF00F8 07EFF11F
	v_cndmask_b32_e64 v29, v248, v250, s[74:75]                // 00000000C5A0: D100001D 012BF5F8
	v_and_or_b32 v92, v29, v249, v28                           // 00000000C5A8: D201005C 0473F31D
	v_accvgpr_read_b32 v30, a250                               // 00000000C5B0: D3D8401E 180001FA
	v_accvgpr_read_b32 v31, a251                               // 00000000C5B8: D3D8401F 180001FB
	v_mul_f32_e32 v30, s47, v30                                // 00000000C5C0: 0A3C3C2F
	v_mul_f32_e32 v31, s47, v31                                // 00000000C5C4: 0A3E3E2F
	v_cmp_u_f32_e64 s[74:75], v30, v30                         // 00000000C5C8: D048004A 00023D1E
	v_bfe_u32 v248, v30, 16, 1                                 // 00000000C5D0: D1C800F8 0205211E
	v_add3_u32 v248, v30, v248, v251                           // 00000000C5D8: D1FF00F8 07EFF11E
	v_cndmask_b32_e64 v28, v248, v250, s[74:75]                // 00000000C5E0: D100001C 012BF5F8
	v_lshrrev_b32_e32 v28, 16, v28                             // 00000000C5E8: 20383890
	v_cmp_u_f32_e64 s[74:75], v31, v31                         // 00000000C5EC: D048004A 00023F1F
	v_bfe_u32 v248, v31, 16, 1                                 // 00000000C5F4: D1C800F8 0205211F
	v_add3_u32 v248, v31, v248, v251                           // 00000000C5FC: D1FF00F8 07EFF11F
	v_cndmask_b32_e64 v29, v248, v250, s[74:75]                // 00000000C604: D100001D 012BF5F8
	v_and_or_b32 v93, v29, v249, v28                           // 00000000C60C: D201005D 0473F31D
	v_accvgpr_read_b32 v30, a252                               // 00000000C614: D3D8401E 180001FC
	v_accvgpr_read_b32 v31, a253                               // 00000000C61C: D3D8401F 180001FD
	v_mul_f32_e32 v30, s47, v30                                // 00000000C624: 0A3C3C2F
	v_mul_f32_e32 v31, s47, v31                                // 00000000C628: 0A3E3E2F
	v_cmp_u_f32_e64 s[74:75], v30, v30                         // 00000000C62C: D048004A 00023D1E
	v_bfe_u32 v248, v30, 16, 1                                 // 00000000C634: D1C800F8 0205211E
	v_add3_u32 v248, v30, v248, v251                           // 00000000C63C: D1FF00F8 07EFF11E
	v_cndmask_b32_e64 v28, v248, v250, s[74:75]                // 00000000C644: D100001C 012BF5F8
	v_lshrrev_b32_e32 v28, 16, v28                             // 00000000C64C: 20383890
	v_cmp_u_f32_e64 s[74:75], v31, v31                         // 00000000C650: D048004A 00023F1F
	v_bfe_u32 v248, v31, 16, 1                                 // 00000000C658: D1C800F8 0205211F
	v_add3_u32 v248, v31, v248, v251                           // 00000000C660: D1FF00F8 07EFF11F
	v_cndmask_b32_e64 v29, v248, v250, s[74:75]                // 00000000C668: D100001D 012BF5F8
	v_and_or_b32 v94, v29, v249, v28                           // 00000000C670: D201005E 0473F31D
	v_accvgpr_read_b32 v30, a254                               // 00000000C678: D3D8401E 180001FE
	v_accvgpr_read_b32 v31, a255                               // 00000000C680: D3D8401F 180001FF
	v_mul_f32_e32 v30, s47, v30                                // 00000000C688: 0A3C3C2F
	v_mul_f32_e32 v31, s47, v31                                // 00000000C68C: 0A3E3E2F
	v_cmp_u_f32_e64 s[74:75], v30, v30                         // 00000000C690: D048004A 00023D1E
	v_bfe_u32 v248, v30, 16, 1                                 // 00000000C698: D1C800F8 0205211E
	v_add3_u32 v248, v30, v248, v251                           // 00000000C6A0: D1FF00F8 07EFF11E
	v_cndmask_b32_e64 v28, v248, v250, s[74:75]                // 00000000C6A8: D100001C 012BF5F8
	v_lshrrev_b32_e32 v28, 16, v28                             // 00000000C6B0: 20383890
	v_cmp_u_f32_e64 s[74:75], v31, v31                         // 00000000C6B4: D048004A 00023F1F
	v_bfe_u32 v248, v31, 16, 1                                 // 00000000C6BC: D1C800F8 0205211F
	v_add3_u32 v248, v31, v248, v251                           // 00000000C6C4: D1FF00F8 07EFF11F
	v_cndmask_b32_e64 v29, v248, v250, s[74:75]                // 00000000C6CC: D100001D 012BF5F8
	v_and_or_b32 v95, v29, v249, v28                           // 00000000C6D4: D201005F 0473F31D
	ds_write_b64 v25, v[80:81] offset:33792                    // 00000000C6DC: D89A8400 00005019
	ds_write_b64 v25, v[82:83] offset:34320                    // 00000000C6E4: D89A8610 00005219
	ds_write_b64 v25, v[84:85] offset:34848                    // 00000000C6EC: D89A8820 00005419
	ds_write_b64 v25, v[86:87] offset:35376                    // 00000000C6F4: D89A8A30 00005619
	ds_write_b64 v25, v[88:89] offset:35904                    // 00000000C6FC: D89A8C40 00005819
	ds_write_b64 v25, v[90:91] offset:36432                    // 00000000C704: D89A8E50 00005A19
	ds_write_b64 v25, v[92:93] offset:36960                    // 00000000C70C: D89A9060 00005C19
	ds_write_b64 v25, v[94:95] offset:37488                    // 00000000C714: D89A9270 00005E19
	s_waitcnt lgkmcnt(0)                                       // 00000000C71C: BF8CC07F
	s_barrier                                                  // 00000000C720: BF8A0000
	ds_read_b64 v[80:81], v24 offset:33792                     // 00000000C724: D8EC8400 50000018
	ds_read_b64 v[82:83], v24 offset:33920                     // 00000000C72C: D8EC8480 52000018
	ds_read_b64 v[84:85], v24 offset:33824                     // 00000000C734: D8EC8420 54000018
	ds_read_b64 v[86:87], v24 offset:33952                     // 00000000C73C: D8EC84A0 56000018
	ds_read_b64 v[88:89], v24 offset:33856                     // 00000000C744: D8EC8440 58000018
	ds_read_b64 v[90:91], v24 offset:33984                     // 00000000C74C: D8EC84C0 5A000018
	ds_read_b64 v[92:93], v24 offset:33888                     // 00000000C754: D8EC8460 5C000018
	ds_read_b64 v[94:95], v24 offset:34016                     // 00000000C75C: D8EC84E0 5E000018
	s_waitcnt lgkmcnt(0)                                       // 00000000C764: BF8CC07F
	s_mov_b32 s70, s52                                         // 00000000C768: BEC60034
	s_mov_b64 exec, s[90:91]                                   // 00000000C76C: BEFE015A
	buffer_store_dwordx4 v[80:83], v5, s[36:39], 0 idxen       // 00000000C770: E07C2000 80095005
	s_mov_b64 exec, s[86:87]                                   // 00000000C778: BEFE0156
	v_add_u32_e32 v5, s70, v5                                  // 00000000C77C: 680A0A46
	s_mov_b64 exec, s[90:91]                                   // 00000000C780: BEFE015A
	buffer_store_dwordx4 v[84:87], v5, s[36:39], 0 idxen       // 00000000C784: E07C2000 80095405
	s_mov_b64 exec, s[86:87]                                   // 00000000C78C: BEFE0156
	v_add_u32_e32 v5, s70, v5                                  // 00000000C790: 680A0A46
	s_mov_b64 exec, s[90:91]                                   // 00000000C794: BEFE015A
	buffer_store_dwordx4 v[88:91], v5, s[36:39], 0 idxen       // 00000000C798: E07C2000 80095805
	s_mov_b64 exec, s[86:87]                                   // 00000000C7A0: BEFE0156
	v_add_u32_e32 v5, s70, v5                                  // 00000000C7A4: 680A0A46
	s_mov_b64 exec, s[90:91]                                   // 00000000C7A8: BEFE015A
	buffer_store_dwordx4 v[92:95], v5, s[36:39], 0 idxen       // 00000000C7AC: E07C2000 80095C05
	s_mov_b64 exec, s[86:87]                                   // 00000000C7B4: BEFE0156
	v_add_u32_e32 v5, s70, v5                                  // 00000000C7B8: 680A0A46
	s_mul_i32 s60, 12, s70                                     // 00000000C7BC: 923C468C
	v_add_u32_e32 v5, s60, v5                                  // 00000000C7C0: 680A0A3C
	s_barrier                                                  // 00000000C7C4: BF8A0000
	s_cmp_ge_i32 3, s73                                        // 00000000C7C8: BF034983
	s_cbranch_scc1 label_228C                                  // 00000000C7CC: BF850000

000000000000c7d0 <label_228C>:
	v_mov_b32_e32 v30, v152                                    // 00000000C7D0: 7E3C0398
	v_mov_b32_e32 v31, v153                                    // 00000000C7D4: 7E3E0399
	v_cmp_u_f32_e64 s[74:75], v30, v30                         // 00000000C7D8: D048004A 00023D1E
	v_bfe_u32 v248, v30, 16, 1                                 // 00000000C7E0: D1C800F8 0205211E
	v_add3_u32 v248, v30, v248, v251                           // 00000000C7E8: D1FF00F8 07EFF11E
	v_cndmask_b32_e64 v28, v248, v250, s[74:75]                // 00000000C7F0: D100001C 012BF5F8
	v_lshrrev_b32_e32 v28, 16, v28                             // 00000000C7F8: 20383890
	v_cmp_u_f32_e64 s[74:75], v31, v31                         // 00000000C7FC: D048004A 00023F1F
	v_bfe_u32 v248, v31, 16, 1                                 // 00000000C804: D1C800F8 0205211F
	v_add3_u32 v248, v31, v248, v251                           // 00000000C80C: D1FF00F8 07EFF11F
	v_cndmask_b32_e64 v29, v248, v250, s[74:75]                // 00000000C814: D100001D 012BF5F8
	v_and_or_b32 v152, v29, v249, v28                          // 00000000C81C: D2010098 0473F31D
	v_mov_b32_e32 v30, v154                                    // 00000000C824: 7E3C039A
	v_mov_b32_e32 v31, v155                                    // 00000000C828: 7E3E039B
	v_cmp_u_f32_e64 s[74:75], v30, v30                         // 00000000C82C: D048004A 00023D1E
	v_bfe_u32 v248, v30, 16, 1                                 // 00000000C834: D1C800F8 0205211E
	v_add3_u32 v248, v30, v248, v251                           // 00000000C83C: D1FF00F8 07EFF11E
	v_cndmask_b32_e64 v28, v248, v250, s[74:75]                // 00000000C844: D100001C 012BF5F8
	v_lshrrev_b32_e32 v28, 16, v28                             // 00000000C84C: 20383890
	v_cmp_u_f32_e64 s[74:75], v31, v31                         // 00000000C850: D048004A 00023F1F
	v_bfe_u32 v248, v31, 16, 1                                 // 00000000C858: D1C800F8 0205211F
	v_add3_u32 v248, v31, v248, v251                           // 00000000C860: D1FF00F8 07EFF11F
	v_cndmask_b32_e64 v29, v248, v250, s[74:75]                // 00000000C868: D100001D 012BF5F8
	v_and_or_b32 v153, v29, v249, v28                          // 00000000C870: D2010099 0473F31D
	v_mov_b32_e32 v30, v156                                    // 00000000C878: 7E3C039C
	v_mov_b32_e32 v31, v157                                    // 00000000C87C: 7E3E039D
	v_cmp_u_f32_e64 s[74:75], v30, v30                         // 00000000C880: D048004A 00023D1E
	v_bfe_u32 v248, v30, 16, 1                                 // 00000000C888: D1C800F8 0205211E
	v_add3_u32 v248, v30, v248, v251                           // 00000000C890: D1FF00F8 07EFF11E
	v_cndmask_b32_e64 v28, v248, v250, s[74:75]                // 00000000C898: D100001C 012BF5F8
	v_lshrrev_b32_e32 v28, 16, v28                             // 00000000C8A0: 20383890
	v_cmp_u_f32_e64 s[74:75], v31, v31                         // 00000000C8A4: D048004A 00023F1F
	v_bfe_u32 v248, v31, 16, 1                                 // 00000000C8AC: D1C800F8 0205211F
	v_add3_u32 v248, v31, v248, v251                           // 00000000C8B4: D1FF00F8 07EFF11F
	v_cndmask_b32_e64 v29, v248, v250, s[74:75]                // 00000000C8BC: D100001D 012BF5F8
	v_and_or_b32 v154, v29, v249, v28                          // 00000000C8C4: D201009A 0473F31D
	v_mov_b32_e32 v30, v158                                    // 00000000C8CC: 7E3C039E
	v_mov_b32_e32 v31, v159                                    // 00000000C8D0: 7E3E039F
	v_cmp_u_f32_e64 s[74:75], v30, v30                         // 00000000C8D4: D048004A 00023D1E
	v_bfe_u32 v248, v30, 16, 1                                 // 00000000C8DC: D1C800F8 0205211E
	v_add3_u32 v248, v30, v248, v251                           // 00000000C8E4: D1FF00F8 07EFF11E
	v_cndmask_b32_e64 v28, v248, v250, s[74:75]                // 00000000C8EC: D100001C 012BF5F8
	v_lshrrev_b32_e32 v28, 16, v28                             // 00000000C8F4: 20383890
	v_cmp_u_f32_e64 s[74:75], v31, v31                         // 00000000C8F8: D048004A 00023F1F
	v_bfe_u32 v248, v31, 16, 1                                 // 00000000C900: D1C800F8 0205211F
	v_add3_u32 v248, v31, v248, v251                           // 00000000C908: D1FF00F8 07EFF11F
	v_cndmask_b32_e64 v29, v248, v250, s[74:75]                // 00000000C910: D100001D 012BF5F8
	v_and_or_b32 v155, v29, v249, v28                          // 00000000C918: D201009B 0473F31D
	v_mov_b32_e32 v30, v160                                    // 00000000C920: 7E3C03A0
	v_mov_b32_e32 v31, v161                                    // 00000000C924: 7E3E03A1
	v_cmp_u_f32_e64 s[74:75], v30, v30                         // 00000000C928: D048004A 00023D1E
	v_bfe_u32 v248, v30, 16, 1                                 // 00000000C930: D1C800F8 0205211E
	v_add3_u32 v248, v30, v248, v251                           // 00000000C938: D1FF00F8 07EFF11E
	v_cndmask_b32_e64 v28, v248, v250, s[74:75]                // 00000000C940: D100001C 012BF5F8
	v_lshrrev_b32_e32 v28, 16, v28                             // 00000000C948: 20383890
	v_cmp_u_f32_e64 s[74:75], v31, v31                         // 00000000C94C: D048004A 00023F1F
	v_bfe_u32 v248, v31, 16, 1                                 // 00000000C954: D1C800F8 0205211F
	v_add3_u32 v248, v31, v248, v251                           // 00000000C95C: D1FF00F8 07EFF11F
	v_cndmask_b32_e64 v29, v248, v250, s[74:75]                // 00000000C964: D100001D 012BF5F8
	v_and_or_b32 v156, v29, v249, v28                          // 00000000C96C: D201009C 0473F31D
	v_mov_b32_e32 v30, v162                                    // 00000000C974: 7E3C03A2
	v_mov_b32_e32 v31, v163                                    // 00000000C978: 7E3E03A3
	v_cmp_u_f32_e64 s[74:75], v30, v30                         // 00000000C97C: D048004A 00023D1E
	v_bfe_u32 v248, v30, 16, 1                                 // 00000000C984: D1C800F8 0205211E
	v_add3_u32 v248, v30, v248, v251                           // 00000000C98C: D1FF00F8 07EFF11E
	v_cndmask_b32_e64 v28, v248, v250, s[74:75]                // 00000000C994: D100001C 012BF5F8
	v_lshrrev_b32_e32 v28, 16, v28                             // 00000000C99C: 20383890
	v_cmp_u_f32_e64 s[74:75], v31, v31                         // 00000000C9A0: D048004A 00023F1F
	v_bfe_u32 v248, v31, 16, 1                                 // 00000000C9A8: D1C800F8 0205211F
	v_add3_u32 v248, v31, v248, v251                           // 00000000C9B0: D1FF00F8 07EFF11F
	v_cndmask_b32_e64 v29, v248, v250, s[74:75]                // 00000000C9B8: D100001D 012BF5F8
	v_and_or_b32 v157, v29, v249, v28                          // 00000000C9C0: D201009D 0473F31D
	v_mov_b32_e32 v30, v164                                    // 00000000C9C8: 7E3C03A4
	v_mov_b32_e32 v31, v165                                    // 00000000C9CC: 7E3E03A5
	v_cmp_u_f32_e64 s[74:75], v30, v30                         // 00000000C9D0: D048004A 00023D1E
	v_bfe_u32 v248, v30, 16, 1                                 // 00000000C9D8: D1C800F8 0205211E
	v_add3_u32 v248, v30, v248, v251                           // 00000000C9E0: D1FF00F8 07EFF11E
	v_cndmask_b32_e64 v28, v248, v250, s[74:75]                // 00000000C9E8: D100001C 012BF5F8
	v_lshrrev_b32_e32 v28, 16, v28                             // 00000000C9F0: 20383890
	v_cmp_u_f32_e64 s[74:75], v31, v31                         // 00000000C9F4: D048004A 00023F1F
	v_bfe_u32 v248, v31, 16, 1                                 // 00000000C9FC: D1C800F8 0205211F
	v_add3_u32 v248, v31, v248, v251                           // 00000000CA04: D1FF00F8 07EFF11F
	v_cndmask_b32_e64 v29, v248, v250, s[74:75]                // 00000000CA0C: D100001D 012BF5F8
	v_and_or_b32 v158, v29, v249, v28                          // 00000000CA14: D201009E 0473F31D
	v_mov_b32_e32 v30, v166                                    // 00000000CA1C: 7E3C03A6
	v_mov_b32_e32 v31, v167                                    // 00000000CA20: 7E3E03A7
	v_cmp_u_f32_e64 s[74:75], v30, v30                         // 00000000CA24: D048004A 00023D1E
	v_bfe_u32 v248, v30, 16, 1                                 // 00000000CA2C: D1C800F8 0205211E
	v_add3_u32 v248, v30, v248, v251                           // 00000000CA34: D1FF00F8 07EFF11E
	v_cndmask_b32_e64 v28, v248, v250, s[74:75]                // 00000000CA3C: D100001C 012BF5F8
	v_lshrrev_b32_e32 v28, 16, v28                             // 00000000CA44: 20383890
	v_cmp_u_f32_e64 s[74:75], v31, v31                         // 00000000CA48: D048004A 00023F1F
	v_bfe_u32 v248, v31, 16, 1                                 // 00000000CA50: D1C800F8 0205211F
	v_add3_u32 v248, v31, v248, v251                           // 00000000CA58: D1FF00F8 07EFF11F
	v_cndmask_b32_e64 v29, v248, v250, s[74:75]                // 00000000CA60: D100001D 012BF5F8
	v_and_or_b32 v159, v29, v249, v28                          // 00000000CA68: D201009F 0473F31D
	v_mov_b32_e32 v30, v168                                    // 00000000CA70: 7E3C03A8
	v_mov_b32_e32 v31, v169                                    // 00000000CA74: 7E3E03A9
	v_cmp_u_f32_e64 s[74:75], v30, v30                         // 00000000CA78: D048004A 00023D1E
	v_bfe_u32 v248, v30, 16, 1                                 // 00000000CA80: D1C800F8 0205211E
	v_add3_u32 v248, v30, v248, v251                           // 00000000CA88: D1FF00F8 07EFF11E
	v_cndmask_b32_e64 v28, v248, v250, s[74:75]                // 00000000CA90: D100001C 012BF5F8
	v_lshrrev_b32_e32 v28, 16, v28                             // 00000000CA98: 20383890
	v_cmp_u_f32_e64 s[74:75], v31, v31                         // 00000000CA9C: D048004A 00023F1F
	v_bfe_u32 v248, v31, 16, 1                                 // 00000000CAA4: D1C800F8 0205211F
	v_add3_u32 v248, v31, v248, v251                           // 00000000CAAC: D1FF00F8 07EFF11F
	v_cndmask_b32_e64 v29, v248, v250, s[74:75]                // 00000000CAB4: D100001D 012BF5F8
	v_and_or_b32 v160, v29, v249, v28                          // 00000000CABC: D20100A0 0473F31D
	v_mov_b32_e32 v30, v170                                    // 00000000CAC4: 7E3C03AA
	v_mov_b32_e32 v31, v171                                    // 00000000CAC8: 7E3E03AB
	v_cmp_u_f32_e64 s[74:75], v30, v30                         // 00000000CACC: D048004A 00023D1E
	v_bfe_u32 v248, v30, 16, 1                                 // 00000000CAD4: D1C800F8 0205211E
	v_add3_u32 v248, v30, v248, v251                           // 00000000CADC: D1FF00F8 07EFF11E
	v_cndmask_b32_e64 v28, v248, v250, s[74:75]                // 00000000CAE4: D100001C 012BF5F8
	v_lshrrev_b32_e32 v28, 16, v28                             // 00000000CAEC: 20383890
	v_cmp_u_f32_e64 s[74:75], v31, v31                         // 00000000CAF0: D048004A 00023F1F
	v_bfe_u32 v248, v31, 16, 1                                 // 00000000CAF8: D1C800F8 0205211F
	v_add3_u32 v248, v31, v248, v251                           // 00000000CB00: D1FF00F8 07EFF11F
	v_cndmask_b32_e64 v29, v248, v250, s[74:75]                // 00000000CB08: D100001D 012BF5F8
	v_and_or_b32 v161, v29, v249, v28                          // 00000000CB10: D20100A1 0473F31D
	v_mov_b32_e32 v30, v172                                    // 00000000CB18: 7E3C03AC
	v_mov_b32_e32 v31, v173                                    // 00000000CB1C: 7E3E03AD
	v_cmp_u_f32_e64 s[74:75], v30, v30                         // 00000000CB20: D048004A 00023D1E
	v_bfe_u32 v248, v30, 16, 1                                 // 00000000CB28: D1C800F8 0205211E
	v_add3_u32 v248, v30, v248, v251                           // 00000000CB30: D1FF00F8 07EFF11E
	v_cndmask_b32_e64 v28, v248, v250, s[74:75]                // 00000000CB38: D100001C 012BF5F8
	v_lshrrev_b32_e32 v28, 16, v28                             // 00000000CB40: 20383890
	v_cmp_u_f32_e64 s[74:75], v31, v31                         // 00000000CB44: D048004A 00023F1F
	v_bfe_u32 v248, v31, 16, 1                                 // 00000000CB4C: D1C800F8 0205211F
	v_add3_u32 v248, v31, v248, v251                           // 00000000CB54: D1FF00F8 07EFF11F
	v_cndmask_b32_e64 v29, v248, v250, s[74:75]                // 00000000CB5C: D100001D 012BF5F8
	v_and_or_b32 v162, v29, v249, v28                          // 00000000CB64: D20100A2 0473F31D
	v_mov_b32_e32 v30, v174                                    // 00000000CB6C: 7E3C03AE
	v_mov_b32_e32 v31, v175                                    // 00000000CB70: 7E3E03AF
	v_cmp_u_f32_e64 s[74:75], v30, v30                         // 00000000CB74: D048004A 00023D1E
	v_bfe_u32 v248, v30, 16, 1                                 // 00000000CB7C: D1C800F8 0205211E
	v_add3_u32 v248, v30, v248, v251                           // 00000000CB84: D1FF00F8 07EFF11E
	v_cndmask_b32_e64 v28, v248, v250, s[74:75]                // 00000000CB8C: D100001C 012BF5F8
	v_lshrrev_b32_e32 v28, 16, v28                             // 00000000CB94: 20383890
	v_cmp_u_f32_e64 s[74:75], v31, v31                         // 00000000CB98: D048004A 00023F1F
	v_bfe_u32 v248, v31, 16, 1                                 // 00000000CBA0: D1C800F8 0205211F
	v_add3_u32 v248, v31, v248, v251                           // 00000000CBA8: D1FF00F8 07EFF11F
	v_cndmask_b32_e64 v29, v248, v250, s[74:75]                // 00000000CBB0: D100001D 012BF5F8
	v_and_or_b32 v163, v29, v249, v28                          // 00000000CBB8: D20100A3 0473F31D
	v_mov_b32_e32 v30, v176                                    // 00000000CBC0: 7E3C03B0
	v_mov_b32_e32 v31, v177                                    // 00000000CBC4: 7E3E03B1
	v_cmp_u_f32_e64 s[74:75], v30, v30                         // 00000000CBC8: D048004A 00023D1E
	v_bfe_u32 v248, v30, 16, 1                                 // 00000000CBD0: D1C800F8 0205211E
	v_add3_u32 v248, v30, v248, v251                           // 00000000CBD8: D1FF00F8 07EFF11E
	v_cndmask_b32_e64 v28, v248, v250, s[74:75]                // 00000000CBE0: D100001C 012BF5F8
	v_lshrrev_b32_e32 v28, 16, v28                             // 00000000CBE8: 20383890
	v_cmp_u_f32_e64 s[74:75], v31, v31                         // 00000000CBEC: D048004A 00023F1F
	v_bfe_u32 v248, v31, 16, 1                                 // 00000000CBF4: D1C800F8 0205211F
	v_add3_u32 v248, v31, v248, v251                           // 00000000CBFC: D1FF00F8 07EFF11F
	v_cndmask_b32_e64 v29, v248, v250, s[74:75]                // 00000000CC04: D100001D 012BF5F8
	v_and_or_b32 v164, v29, v249, v28                          // 00000000CC0C: D20100A4 0473F31D
	v_mov_b32_e32 v30, v178                                    // 00000000CC14: 7E3C03B2
	v_mov_b32_e32 v31, v179                                    // 00000000CC18: 7E3E03B3
	v_cmp_u_f32_e64 s[74:75], v30, v30                         // 00000000CC1C: D048004A 00023D1E
	v_bfe_u32 v248, v30, 16, 1                                 // 00000000CC24: D1C800F8 0205211E
	v_add3_u32 v248, v30, v248, v251                           // 00000000CC2C: D1FF00F8 07EFF11E
	v_cndmask_b32_e64 v28, v248, v250, s[74:75]                // 00000000CC34: D100001C 012BF5F8
	v_lshrrev_b32_e32 v28, 16, v28                             // 00000000CC3C: 20383890
	v_cmp_u_f32_e64 s[74:75], v31, v31                         // 00000000CC40: D048004A 00023F1F
	v_bfe_u32 v248, v31, 16, 1                                 // 00000000CC48: D1C800F8 0205211F
	v_add3_u32 v248, v31, v248, v251                           // 00000000CC50: D1FF00F8 07EFF11F
	v_cndmask_b32_e64 v29, v248, v250, s[74:75]                // 00000000CC58: D100001D 012BF5F8
	v_and_or_b32 v165, v29, v249, v28                          // 00000000CC60: D20100A5 0473F31D
	v_mov_b32_e32 v30, v180                                    // 00000000CC68: 7E3C03B4
	v_mov_b32_e32 v31, v181                                    // 00000000CC6C: 7E3E03B5
	v_cmp_u_f32_e64 s[74:75], v30, v30                         // 00000000CC70: D048004A 00023D1E
	v_bfe_u32 v248, v30, 16, 1                                 // 00000000CC78: D1C800F8 0205211E
	v_add3_u32 v248, v30, v248, v251                           // 00000000CC80: D1FF00F8 07EFF11E
	v_cndmask_b32_e64 v28, v248, v250, s[74:75]                // 00000000CC88: D100001C 012BF5F8
	v_lshrrev_b32_e32 v28, 16, v28                             // 00000000CC90: 20383890
	v_cmp_u_f32_e64 s[74:75], v31, v31                         // 00000000CC94: D048004A 00023F1F
	v_bfe_u32 v248, v31, 16, 1                                 // 00000000CC9C: D1C800F8 0205211F
	v_add3_u32 v248, v31, v248, v251                           // 00000000CCA4: D1FF00F8 07EFF11F
	v_cndmask_b32_e64 v29, v248, v250, s[74:75]                // 00000000CCAC: D100001D 012BF5F8
	v_and_or_b32 v166, v29, v249, v28                          // 00000000CCB4: D20100A6 0473F31D
	v_mov_b32_e32 v30, v182                                    // 00000000CCBC: 7E3C03B6
	v_mov_b32_e32 v31, v183                                    // 00000000CCC0: 7E3E03B7
	v_cmp_u_f32_e64 s[74:75], v30, v30                         // 00000000CCC4: D048004A 00023D1E
	v_bfe_u32 v248, v30, 16, 1                                 // 00000000CCCC: D1C800F8 0205211E
	v_add3_u32 v248, v30, v248, v251                           // 00000000CCD4: D1FF00F8 07EFF11E
	v_cndmask_b32_e64 v28, v248, v250, s[74:75]                // 00000000CCDC: D100001C 012BF5F8
	v_lshrrev_b32_e32 v28, 16, v28                             // 00000000CCE4: 20383890
	v_cmp_u_f32_e64 s[74:75], v31, v31                         // 00000000CCE8: D048004A 00023F1F
	v_bfe_u32 v248, v31, 16, 1                                 // 00000000CCF0: D1C800F8 0205211F
	v_add3_u32 v248, v31, v248, v251                           // 00000000CCF8: D1FF00F8 07EFF11F
	v_cndmask_b32_e64 v29, v248, v250, s[74:75]                // 00000000CD00: D100001D 012BF5F8
	v_and_or_b32 v167, v29, v249, v28                          // 00000000CD08: D20100A7 0473F31D
	ds_write_b64 v25, v[152:153]                               // 00000000CD10: D89A0000 00009819
	ds_write_b64 v25, v[154:155] offset:528                    // 00000000CD18: D89A0210 00009A19
	ds_write_b64 v25, v[156:157] offset:1056                   // 00000000CD20: D89A0420 00009C19
	ds_write_b64 v25, v[158:159] offset:1584                   // 00000000CD28: D89A0630 00009E19
	ds_write_b64 v25, v[160:161] offset:2112                   // 00000000CD30: D89A0840 0000A019
	ds_write_b64 v25, v[162:163] offset:2640                   // 00000000CD38: D89A0A50 0000A219
	ds_write_b64 v25, v[164:165] offset:3168                   // 00000000CD40: D89A0C60 0000A419
	ds_write_b64 v25, v[166:167] offset:3696                   // 00000000CD48: D89A0E70 0000A619
	s_waitcnt lgkmcnt(0)                                       // 00000000CD50: BF8CC07F
	s_barrier                                                  // 00000000CD54: BF8A0000
	ds_read_b64 v[152:153], v24                                // 00000000CD58: D8EC0000 98000018
	ds_read_b64 v[154:155], v24 offset:128                     // 00000000CD60: D8EC0080 9A000018
	ds_read_b64 v[156:157], v24 offset:32                      // 00000000CD68: D8EC0020 9C000018
	ds_read_b64 v[158:159], v24 offset:160                     // 00000000CD70: D8EC00A0 9E000018
	ds_read_b64 v[160:161], v24 offset:64                      // 00000000CD78: D8EC0040 A0000018
	ds_read_b64 v[162:163], v24 offset:192                     // 00000000CD80: D8EC00C0 A2000018
	ds_read_b64 v[164:165], v24 offset:96                      // 00000000CD88: D8EC0060 A4000018
	ds_read_b64 v[166:167], v24 offset:224                     // 00000000CD90: D8EC00E0 A6000018
	s_waitcnt lgkmcnt(0)                                       // 00000000CD98: BF8CC07F
	s_mov_b32 s70, s53                                         // 00000000CD9C: BEC60035
	s_mov_b64 exec, s[90:91]                                   // 00000000CDA0: BEFE015A
	buffer_store_dwordx4 v[152:155], v6, s[40:43], 0 idxen     // 00000000CDA4: E07C2000 800A9806
	s_mov_b64 exec, s[86:87]                                   // 00000000CDAC: BEFE0156
	v_add_u32_e32 v6, s70, v6                                  // 00000000CDB0: 680C0C46
	s_mov_b64 exec, s[90:91]                                   // 00000000CDB4: BEFE015A
	buffer_store_dwordx4 v[156:159], v6, s[40:43], 0 idxen     // 00000000CDB8: E07C2000 800A9C06
	s_mov_b64 exec, s[86:87]                                   // 00000000CDC0: BEFE0156
	v_add_u32_e32 v6, s70, v6                                  // 00000000CDC4: 680C0C46
	s_mov_b64 exec, s[90:91]                                   // 00000000CDC8: BEFE015A
	buffer_store_dwordx4 v[160:163], v6, s[40:43], 0 idxen     // 00000000CDCC: E07C2000 800AA006
	s_mov_b64 exec, s[86:87]                                   // 00000000CDD4: BEFE0156
	v_add_u32_e32 v6, s70, v6                                  // 00000000CDD8: 680C0C46
	s_mov_b64 exec, s[90:91]                                   // 00000000CDDC: BEFE015A
	buffer_store_dwordx4 v[164:167], v6, s[40:43], 0 idxen     // 00000000CDE0: E07C2000 800AA406
	s_mov_b64 exec, s[86:87]                                   // 00000000CDE8: BEFE0156
	v_add_u32_e32 v6, s70, v6                                  // 00000000CDEC: 680C0C46
	s_mul_i32 s60, 12, s70                                     // 00000000CDF0: 923C468C
	v_add_u32_e32 v6, s60, v6                                  // 00000000CDF4: 680C0C3C
	s_cmp_ge_i32 1, s73                                        // 00000000CDF8: BF034981
	s_cbranch_scc1 label_2730                                  // 00000000CDFC: BF850318
	v_mov_b32_e32 v30, v184                                    // 00000000CE00: 7E3C03B8
	v_mov_b32_e32 v31, v185                                    // 00000000CE04: 7E3E03B9
	v_cmp_u_f32_e64 s[74:75], v30, v30                         // 00000000CE08: D048004A 00023D1E
	v_bfe_u32 v248, v30, 16, 1                                 // 00000000CE10: D1C800F8 0205211E
	v_add3_u32 v248, v30, v248, v251                           // 00000000CE18: D1FF00F8 07EFF11E
	v_cndmask_b32_e64 v28, v248, v250, s[74:75]                // 00000000CE20: D100001C 012BF5F8
	v_lshrrev_b32_e32 v28, 16, v28                             // 00000000CE28: 20383890
	v_cmp_u_f32_e64 s[74:75], v31, v31                         // 00000000CE2C: D048004A 00023F1F
	v_bfe_u32 v248, v31, 16, 1                                 // 00000000CE34: D1C800F8 0205211F
	v_add3_u32 v248, v31, v248, v251                           // 00000000CE3C: D1FF00F8 07EFF11F
	v_cndmask_b32_e64 v29, v248, v250, s[74:75]                // 00000000CE44: D100001D 012BF5F8
	v_and_or_b32 v168, v29, v249, v28                          // 00000000CE4C: D20100A8 0473F31D
	v_mov_b32_e32 v30, v186                                    // 00000000CE54: 7E3C03BA
	v_mov_b32_e32 v31, v187                                    // 00000000CE58: 7E3E03BB
	v_cmp_u_f32_e64 s[74:75], v30, v30                         // 00000000CE5C: D048004A 00023D1E
	v_bfe_u32 v248, v30, 16, 1                                 // 00000000CE64: D1C800F8 0205211E
	v_add3_u32 v248, v30, v248, v251                           // 00000000CE6C: D1FF00F8 07EFF11E
	v_cndmask_b32_e64 v28, v248, v250, s[74:75]                // 00000000CE74: D100001C 012BF5F8
	v_lshrrev_b32_e32 v28, 16, v28                             // 00000000CE7C: 20383890
	v_cmp_u_f32_e64 s[74:75], v31, v31                         // 00000000CE80: D048004A 00023F1F
	v_bfe_u32 v248, v31, 16, 1                                 // 00000000CE88: D1C800F8 0205211F
	v_add3_u32 v248, v31, v248, v251                           // 00000000CE90: D1FF00F8 07EFF11F
	v_cndmask_b32_e64 v29, v248, v250, s[74:75]                // 00000000CE98: D100001D 012BF5F8
	v_and_or_b32 v169, v29, v249, v28                          // 00000000CEA0: D20100A9 0473F31D
	v_mov_b32_e32 v30, v188                                    // 00000000CEA8: 7E3C03BC
	v_mov_b32_e32 v31, v189                                    // 00000000CEAC: 7E3E03BD
	v_cmp_u_f32_e64 s[74:75], v30, v30                         // 00000000CEB0: D048004A 00023D1E
	v_bfe_u32 v248, v30, 16, 1                                 // 00000000CEB8: D1C800F8 0205211E
	v_add3_u32 v248, v30, v248, v251                           // 00000000CEC0: D1FF00F8 07EFF11E
	v_cndmask_b32_e64 v28, v248, v250, s[74:75]                // 00000000CEC8: D100001C 012BF5F8
	v_lshrrev_b32_e32 v28, 16, v28                             // 00000000CED0: 20383890
	v_cmp_u_f32_e64 s[74:75], v31, v31                         // 00000000CED4: D048004A 00023F1F
	v_bfe_u32 v248, v31, 16, 1                                 // 00000000CEDC: D1C800F8 0205211F
	v_add3_u32 v248, v31, v248, v251                           // 00000000CEE4: D1FF00F8 07EFF11F
	v_cndmask_b32_e64 v29, v248, v250, s[74:75]                // 00000000CEEC: D100001D 012BF5F8
	v_and_or_b32 v170, v29, v249, v28                          // 00000000CEF4: D20100AA 0473F31D
	v_mov_b32_e32 v30, v190                                    // 00000000CEFC: 7E3C03BE
	v_mov_b32_e32 v31, v191                                    // 00000000CF00: 7E3E03BF
	v_cmp_u_f32_e64 s[74:75], v30, v30                         // 00000000CF04: D048004A 00023D1E
	v_bfe_u32 v248, v30, 16, 1                                 // 00000000CF0C: D1C800F8 0205211E
	v_add3_u32 v248, v30, v248, v251                           // 00000000CF14: D1FF00F8 07EFF11E
	v_cndmask_b32_e64 v28, v248, v250, s[74:75]                // 00000000CF1C: D100001C 012BF5F8
	v_lshrrev_b32_e32 v28, 16, v28                             // 00000000CF24: 20383890
	v_cmp_u_f32_e64 s[74:75], v31, v31                         // 00000000CF28: D048004A 00023F1F
	v_bfe_u32 v248, v31, 16, 1                                 // 00000000CF30: D1C800F8 0205211F
	v_add3_u32 v248, v31, v248, v251                           // 00000000CF38: D1FF00F8 07EFF11F
	v_cndmask_b32_e64 v29, v248, v250, s[74:75]                // 00000000CF40: D100001D 012BF5F8
	v_and_or_b32 v171, v29, v249, v28                          // 00000000CF48: D20100AB 0473F31D
	v_mov_b32_e32 v30, v192                                    // 00000000CF50: 7E3C03C0
	v_mov_b32_e32 v31, v193                                    // 00000000CF54: 7E3E03C1
	v_cmp_u_f32_e64 s[74:75], v30, v30                         // 00000000CF58: D048004A 00023D1E
	v_bfe_u32 v248, v30, 16, 1                                 // 00000000CF60: D1C800F8 0205211E
	v_add3_u32 v248, v30, v248, v251                           // 00000000CF68: D1FF00F8 07EFF11E
	v_cndmask_b32_e64 v28, v248, v250, s[74:75]                // 00000000CF70: D100001C 012BF5F8
	v_lshrrev_b32_e32 v28, 16, v28                             // 00000000CF78: 20383890
	v_cmp_u_f32_e64 s[74:75], v31, v31                         // 00000000CF7C: D048004A 00023F1F
	v_bfe_u32 v248, v31, 16, 1                                 // 00000000CF84: D1C800F8 0205211F
	v_add3_u32 v248, v31, v248, v251                           // 00000000CF8C: D1FF00F8 07EFF11F
	v_cndmask_b32_e64 v29, v248, v250, s[74:75]                // 00000000CF94: D100001D 012BF5F8
	v_and_or_b32 v172, v29, v249, v28                          // 00000000CF9C: D20100AC 0473F31D
	v_mov_b32_e32 v30, v194                                    // 00000000CFA4: 7E3C03C2
	v_mov_b32_e32 v31, v195                                    // 00000000CFA8: 7E3E03C3
	v_cmp_u_f32_e64 s[74:75], v30, v30                         // 00000000CFAC: D048004A 00023D1E
	v_bfe_u32 v248, v30, 16, 1                                 // 00000000CFB4: D1C800F8 0205211E
	v_add3_u32 v248, v30, v248, v251                           // 00000000CFBC: D1FF00F8 07EFF11E
	v_cndmask_b32_e64 v28, v248, v250, s[74:75]                // 00000000CFC4: D100001C 012BF5F8
	v_lshrrev_b32_e32 v28, 16, v28                             // 00000000CFCC: 20383890
	v_cmp_u_f32_e64 s[74:75], v31, v31                         // 00000000CFD0: D048004A 00023F1F
	v_bfe_u32 v248, v31, 16, 1                                 // 00000000CFD8: D1C800F8 0205211F
	v_add3_u32 v248, v31, v248, v251                           // 00000000CFE0: D1FF00F8 07EFF11F
	v_cndmask_b32_e64 v29, v248, v250, s[74:75]                // 00000000CFE8: D100001D 012BF5F8
	v_and_or_b32 v173, v29, v249, v28                          // 00000000CFF0: D20100AD 0473F31D
	v_mov_b32_e32 v30, v196                                    // 00000000CFF8: 7E3C03C4
	v_mov_b32_e32 v31, v197                                    // 00000000CFFC: 7E3E03C5
	v_cmp_u_f32_e64 s[74:75], v30, v30                         // 00000000D000: D048004A 00023D1E
	v_bfe_u32 v248, v30, 16, 1                                 // 00000000D008: D1C800F8 0205211E
	v_add3_u32 v248, v30, v248, v251                           // 00000000D010: D1FF00F8 07EFF11E
	v_cndmask_b32_e64 v28, v248, v250, s[74:75]                // 00000000D018: D100001C 012BF5F8
	v_lshrrev_b32_e32 v28, 16, v28                             // 00000000D020: 20383890
	v_cmp_u_f32_e64 s[74:75], v31, v31                         // 00000000D024: D048004A 00023F1F
	v_bfe_u32 v248, v31, 16, 1                                 // 00000000D02C: D1C800F8 0205211F
	v_add3_u32 v248, v31, v248, v251                           // 00000000D034: D1FF00F8 07EFF11F
	v_cndmask_b32_e64 v29, v248, v250, s[74:75]                // 00000000D03C: D100001D 012BF5F8
	v_and_or_b32 v174, v29, v249, v28                          // 00000000D044: D20100AE 0473F31D
	v_mov_b32_e32 v30, v198                                    // 00000000D04C: 7E3C03C6
	v_mov_b32_e32 v31, v199                                    // 00000000D050: 7E3E03C7
	v_cmp_u_f32_e64 s[74:75], v30, v30                         // 00000000D054: D048004A 00023D1E
	v_bfe_u32 v248, v30, 16, 1                                 // 00000000D05C: D1C800F8 0205211E
	v_add3_u32 v248, v30, v248, v251                           // 00000000D064: D1FF00F8 07EFF11E
	v_cndmask_b32_e64 v28, v248, v250, s[74:75]                // 00000000D06C: D100001C 012BF5F8
	v_lshrrev_b32_e32 v28, 16, v28                             // 00000000D074: 20383890
	v_cmp_u_f32_e64 s[74:75], v31, v31                         // 00000000D078: D048004A 00023F1F
	v_bfe_u32 v248, v31, 16, 1                                 // 00000000D080: D1C800F8 0205211F
	v_add3_u32 v248, v31, v248, v251                           // 00000000D088: D1FF00F8 07EFF11F
	v_cndmask_b32_e64 v29, v248, v250, s[74:75]                // 00000000D090: D100001D 012BF5F8
	v_and_or_b32 v175, v29, v249, v28                          // 00000000D098: D20100AF 0473F31D
	v_mov_b32_e32 v30, v200                                    // 00000000D0A0: 7E3C03C8
	v_mov_b32_e32 v31, v201                                    // 00000000D0A4: 7E3E03C9
	v_cmp_u_f32_e64 s[74:75], v30, v30                         // 00000000D0A8: D048004A 00023D1E
	v_bfe_u32 v248, v30, 16, 1                                 // 00000000D0B0: D1C800F8 0205211E
	v_add3_u32 v248, v30, v248, v251                           // 00000000D0B8: D1FF00F8 07EFF11E
	v_cndmask_b32_e64 v28, v248, v250, s[74:75]                // 00000000D0C0: D100001C 012BF5F8
	v_lshrrev_b32_e32 v28, 16, v28                             // 00000000D0C8: 20383890
	v_cmp_u_f32_e64 s[74:75], v31, v31                         // 00000000D0CC: D048004A 00023F1F
	v_bfe_u32 v248, v31, 16, 1                                 // 00000000D0D4: D1C800F8 0205211F
	v_add3_u32 v248, v31, v248, v251                           // 00000000D0DC: D1FF00F8 07EFF11F
	v_cndmask_b32_e64 v29, v248, v250, s[74:75]                // 00000000D0E4: D100001D 012BF5F8
	v_and_or_b32 v176, v29, v249, v28                          // 00000000D0EC: D20100B0 0473F31D
	v_mov_b32_e32 v30, v202                                    // 00000000D0F4: 7E3C03CA
	v_mov_b32_e32 v31, v203                                    // 00000000D0F8: 7E3E03CB
	v_cmp_u_f32_e64 s[74:75], v30, v30                         // 00000000D0FC: D048004A 00023D1E
	v_bfe_u32 v248, v30, 16, 1                                 // 00000000D104: D1C800F8 0205211E
	v_add3_u32 v248, v30, v248, v251                           // 00000000D10C: D1FF00F8 07EFF11E
	v_cndmask_b32_e64 v28, v248, v250, s[74:75]                // 00000000D114: D100001C 012BF5F8
	v_lshrrev_b32_e32 v28, 16, v28                             // 00000000D11C: 20383890
	v_cmp_u_f32_e64 s[74:75], v31, v31                         // 00000000D120: D048004A 00023F1F
	v_bfe_u32 v248, v31, 16, 1                                 // 00000000D128: D1C800F8 0205211F
	v_add3_u32 v248, v31, v248, v251                           // 00000000D130: D1FF00F8 07EFF11F
	v_cndmask_b32_e64 v29, v248, v250, s[74:75]                // 00000000D138: D100001D 012BF5F8
	v_and_or_b32 v177, v29, v249, v28                          // 00000000D140: D20100B1 0473F31D
	v_mov_b32_e32 v30, v204                                    // 00000000D148: 7E3C03CC
	v_mov_b32_e32 v31, v205                                    // 00000000D14C: 7E3E03CD
	v_cmp_u_f32_e64 s[74:75], v30, v30                         // 00000000D150: D048004A 00023D1E
	v_bfe_u32 v248, v30, 16, 1                                 // 00000000D158: D1C800F8 0205211E
	v_add3_u32 v248, v30, v248, v251                           // 00000000D160: D1FF00F8 07EFF11E
	v_cndmask_b32_e64 v28, v248, v250, s[74:75]                // 00000000D168: D100001C 012BF5F8
	v_lshrrev_b32_e32 v28, 16, v28                             // 00000000D170: 20383890
	v_cmp_u_f32_e64 s[74:75], v31, v31                         // 00000000D174: D048004A 00023F1F
	v_bfe_u32 v248, v31, 16, 1                                 // 00000000D17C: D1C800F8 0205211F
	v_add3_u32 v248, v31, v248, v251                           // 00000000D184: D1FF00F8 07EFF11F
	v_cndmask_b32_e64 v29, v248, v250, s[74:75]                // 00000000D18C: D100001D 012BF5F8
	v_and_or_b32 v178, v29, v249, v28                          // 00000000D194: D20100B2 0473F31D
	v_mov_b32_e32 v30, v206                                    // 00000000D19C: 7E3C03CE
	v_mov_b32_e32 v31, v207                                    // 00000000D1A0: 7E3E03CF
	v_cmp_u_f32_e64 s[74:75], v30, v30                         // 00000000D1A4: D048004A 00023D1E
	v_bfe_u32 v248, v30, 16, 1                                 // 00000000D1AC: D1C800F8 0205211E
	v_add3_u32 v248, v30, v248, v251                           // 00000000D1B4: D1FF00F8 07EFF11E
	v_cndmask_b32_e64 v28, v248, v250, s[74:75]                // 00000000D1BC: D100001C 012BF5F8
	v_lshrrev_b32_e32 v28, 16, v28                             // 00000000D1C4: 20383890
	v_cmp_u_f32_e64 s[74:75], v31, v31                         // 00000000D1C8: D048004A 00023F1F
	v_bfe_u32 v248, v31, 16, 1                                 // 00000000D1D0: D1C800F8 0205211F
	v_add3_u32 v248, v31, v248, v251                           // 00000000D1D8: D1FF00F8 07EFF11F
	v_cndmask_b32_e64 v29, v248, v250, s[74:75]                // 00000000D1E0: D100001D 012BF5F8
	v_and_or_b32 v179, v29, v249, v28                          // 00000000D1E8: D20100B3 0473F31D
	v_mov_b32_e32 v30, v208                                    // 00000000D1F0: 7E3C03D0
	v_mov_b32_e32 v31, v209                                    // 00000000D1F4: 7E3E03D1
	v_cmp_u_f32_e64 s[74:75], v30, v30                         // 00000000D1F8: D048004A 00023D1E
	v_bfe_u32 v248, v30, 16, 1                                 // 00000000D200: D1C800F8 0205211E
	v_add3_u32 v248, v30, v248, v251                           // 00000000D208: D1FF00F8 07EFF11E
	v_cndmask_b32_e64 v28, v248, v250, s[74:75]                // 00000000D210: D100001C 012BF5F8
	v_lshrrev_b32_e32 v28, 16, v28                             // 00000000D218: 20383890
	v_cmp_u_f32_e64 s[74:75], v31, v31                         // 00000000D21C: D048004A 00023F1F
	v_bfe_u32 v248, v31, 16, 1                                 // 00000000D224: D1C800F8 0205211F
	v_add3_u32 v248, v31, v248, v251                           // 00000000D22C: D1FF00F8 07EFF11F
	v_cndmask_b32_e64 v29, v248, v250, s[74:75]                // 00000000D234: D100001D 012BF5F8
	v_and_or_b32 v180, v29, v249, v28                          // 00000000D23C: D20100B4 0473F31D
	v_mov_b32_e32 v30, v210                                    // 00000000D244: 7E3C03D2
	v_mov_b32_e32 v31, v211                                    // 00000000D248: 7E3E03D3
	v_cmp_u_f32_e64 s[74:75], v30, v30                         // 00000000D24C: D048004A 00023D1E
	v_bfe_u32 v248, v30, 16, 1                                 // 00000000D254: D1C800F8 0205211E
	v_add3_u32 v248, v30, v248, v251                           // 00000000D25C: D1FF00F8 07EFF11E
	v_cndmask_b32_e64 v28, v248, v250, s[74:75]                // 00000000D264: D100001C 012BF5F8
	v_lshrrev_b32_e32 v28, 16, v28                             // 00000000D26C: 20383890
	v_cmp_u_f32_e64 s[74:75], v31, v31                         // 00000000D270: D048004A 00023F1F
	v_bfe_u32 v248, v31, 16, 1                                 // 00000000D278: D1C800F8 0205211F
	v_add3_u32 v248, v31, v248, v251                           // 00000000D280: D1FF00F8 07EFF11F
	v_cndmask_b32_e64 v29, v248, v250, s[74:75]                // 00000000D288: D100001D 012BF5F8
	v_and_or_b32 v181, v29, v249, v28                          // 00000000D290: D20100B5 0473F31D
	v_mov_b32_e32 v30, v212                                    // 00000000D298: 7E3C03D4
	v_mov_b32_e32 v31, v213                                    // 00000000D29C: 7E3E03D5
	v_cmp_u_f32_e64 s[74:75], v30, v30                         // 00000000D2A0: D048004A 00023D1E
	v_bfe_u32 v248, v30, 16, 1                                 // 00000000D2A8: D1C800F8 0205211E
	v_add3_u32 v248, v30, v248, v251                           // 00000000D2B0: D1FF00F8 07EFF11E
	v_cndmask_b32_e64 v28, v248, v250, s[74:75]                // 00000000D2B8: D100001C 012BF5F8
	v_lshrrev_b32_e32 v28, 16, v28                             // 00000000D2C0: 20383890
	v_cmp_u_f32_e64 s[74:75], v31, v31                         // 00000000D2C4: D048004A 00023F1F
	v_bfe_u32 v248, v31, 16, 1                                 // 00000000D2CC: D1C800F8 0205211F
	v_add3_u32 v248, v31, v248, v251                           // 00000000D2D4: D1FF00F8 07EFF11F
	v_cndmask_b32_e64 v29, v248, v250, s[74:75]                // 00000000D2DC: D100001D 012BF5F8
	v_and_or_b32 v182, v29, v249, v28                          // 00000000D2E4: D20100B6 0473F31D
	v_mov_b32_e32 v30, v214                                    // 00000000D2EC: 7E3C03D6
	v_mov_b32_e32 v31, v215                                    // 00000000D2F0: 7E3E03D7
	v_cmp_u_f32_e64 s[74:75], v30, v30                         // 00000000D2F4: D048004A 00023D1E
	v_bfe_u32 v248, v30, 16, 1                                 // 00000000D2FC: D1C800F8 0205211E
	v_add3_u32 v248, v30, v248, v251                           // 00000000D304: D1FF00F8 07EFF11E
	v_cndmask_b32_e64 v28, v248, v250, s[74:75]                // 00000000D30C: D100001C 012BF5F8
	v_lshrrev_b32_e32 v28, 16, v28                             // 00000000D314: 20383890
	v_cmp_u_f32_e64 s[74:75], v31, v31                         // 00000000D318: D048004A 00023F1F
	v_bfe_u32 v248, v31, 16, 1                                 // 00000000D320: D1C800F8 0205211F
	v_add3_u32 v248, v31, v248, v251                           // 00000000D328: D1FF00F8 07EFF11F
	v_cndmask_b32_e64 v29, v248, v250, s[74:75]                // 00000000D330: D100001D 012BF5F8
	v_and_or_b32 v183, v29, v249, v28                          // 00000000D338: D20100B7 0473F31D
	ds_write_b64 v25, v[168:169] offset:16896                  // 00000000D340: D89A4200 0000A819
	ds_write_b64 v25, v[170:171] offset:17424                  // 00000000D348: D89A4410 0000AA19
	ds_write_b64 v25, v[172:173] offset:17952                  // 00000000D350: D89A4620 0000AC19
	ds_write_b64 v25, v[174:175] offset:18480                  // 00000000D358: D89A4830 0000AE19
	ds_write_b64 v25, v[176:177] offset:19008                  // 00000000D360: D89A4A40 0000B019
	ds_write_b64 v25, v[178:179] offset:19536                  // 00000000D368: D89A4C50 0000B219
	ds_write_b64 v25, v[180:181] offset:20064                  // 00000000D370: D89A4E60 0000B419
	ds_write_b64 v25, v[182:183] offset:20592                  // 00000000D378: D89A5070 0000B619
	s_waitcnt lgkmcnt(0)                                       // 00000000D380: BF8CC07F
	s_barrier                                                  // 00000000D384: BF8A0000
	ds_read_b64 v[168:169], v24 offset:16896                   // 00000000D388: D8EC4200 A8000018
	ds_read_b64 v[170:171], v24 offset:17024                   // 00000000D390: D8EC4280 AA000018
	ds_read_b64 v[172:173], v24 offset:16928                   // 00000000D398: D8EC4220 AC000018
	ds_read_b64 v[174:175], v24 offset:17056                   // 00000000D3A0: D8EC42A0 AE000018
	ds_read_b64 v[176:177], v24 offset:16960                   // 00000000D3A8: D8EC4240 B0000018
	ds_read_b64 v[178:179], v24 offset:17088                   // 00000000D3B0: D8EC42C0 B2000018
	ds_read_b64 v[180:181], v24 offset:16992                   // 00000000D3B8: D8EC4260 B4000018
	ds_read_b64 v[182:183], v24 offset:17120                   // 00000000D3C0: D8EC42E0 B6000018
	s_waitcnt lgkmcnt(0)                                       // 00000000D3C8: BF8CC07F
	s_mov_b32 s70, s53                                         // 00000000D3CC: BEC60035
	s_mov_b64 exec, s[90:91]                                   // 00000000D3D0: BEFE015A
	buffer_store_dwordx4 v[168:171], v6, s[40:43], 0 idxen     // 00000000D3D4: E07C2000 800AA806
	s_mov_b64 exec, s[86:87]                                   // 00000000D3DC: BEFE0156
	v_add_u32_e32 v6, s70, v6                                  // 00000000D3E0: 680C0C46
	s_mov_b64 exec, s[90:91]                                   // 00000000D3E4: BEFE015A
	buffer_store_dwordx4 v[172:175], v6, s[40:43], 0 idxen     // 00000000D3E8: E07C2000 800AAC06
	s_mov_b64 exec, s[86:87]                                   // 00000000D3F0: BEFE0156
	v_add_u32_e32 v6, s70, v6                                  // 00000000D3F4: 680C0C46
	s_mov_b64 exec, s[90:91]                                   // 00000000D3F8: BEFE015A
	buffer_store_dwordx4 v[176:179], v6, s[40:43], 0 idxen     // 00000000D3FC: E07C2000 800AB006
	s_mov_b64 exec, s[86:87]                                   // 00000000D404: BEFE0156
	v_add_u32_e32 v6, s70, v6                                  // 00000000D408: 680C0C46
	s_mov_b64 exec, s[90:91]                                   // 00000000D40C: BEFE015A
	buffer_store_dwordx4 v[180:183], v6, s[40:43], 0 idxen     // 00000000D410: E07C2000 800AB406
	s_mov_b64 exec, s[86:87]                                   // 00000000D418: BEFE0156
	v_add_u32_e32 v6, s70, v6                                  // 00000000D41C: 680C0C46
	s_mul_i32 s60, 12, s70                                     // 00000000D420: 923C468C
	v_add_u32_e32 v6, s60, v6                                  // 00000000D424: 680C0C3C
	s_cmp_ge_i32 2, s73                                        // 00000000D428: BF034982
	s_cbranch_scc1 label_2730                                  // 00000000D42C: BF85018C
	v_mov_b32_e32 v30, v216                                    // 00000000D430: 7E3C03D8
	v_mov_b32_e32 v31, v217                                    // 00000000D434: 7E3E03D9
	v_cmp_u_f32_e64 s[74:75], v30, v30                         // 00000000D438: D048004A 00023D1E
	v_bfe_u32 v248, v30, 16, 1                                 // 00000000D440: D1C800F8 0205211E
	v_add3_u32 v248, v30, v248, v251                           // 00000000D448: D1FF00F8 07EFF11E
	v_cndmask_b32_e64 v28, v248, v250, s[74:75]                // 00000000D450: D100001C 012BF5F8
	v_lshrrev_b32_e32 v28, 16, v28                             // 00000000D458: 20383890
	v_cmp_u_f32_e64 s[74:75], v31, v31                         // 00000000D45C: D048004A 00023F1F
	v_bfe_u32 v248, v31, 16, 1                                 // 00000000D464: D1C800F8 0205211F
	v_add3_u32 v248, v31, v248, v251                           // 00000000D46C: D1FF00F8 07EFF11F
	v_cndmask_b32_e64 v29, v248, v250, s[74:75]                // 00000000D474: D100001D 012BF5F8
	v_and_or_b32 v184, v29, v249, v28                          // 00000000D47C: D20100B8 0473F31D
	v_mov_b32_e32 v30, v218                                    // 00000000D484: 7E3C03DA
	v_mov_b32_e32 v31, v219                                    // 00000000D488: 7E3E03DB
	v_cmp_u_f32_e64 s[74:75], v30, v30                         // 00000000D48C: D048004A 00023D1E
	v_bfe_u32 v248, v30, 16, 1                                 // 00000000D494: D1C800F8 0205211E
	v_add3_u32 v248, v30, v248, v251                           // 00000000D49C: D1FF00F8 07EFF11E
	v_cndmask_b32_e64 v28, v248, v250, s[74:75]                // 00000000D4A4: D100001C 012BF5F8
	v_lshrrev_b32_e32 v28, 16, v28                             // 00000000D4AC: 20383890
	v_cmp_u_f32_e64 s[74:75], v31, v31                         // 00000000D4B0: D048004A 00023F1F
	v_bfe_u32 v248, v31, 16, 1                                 // 00000000D4B8: D1C800F8 0205211F
	v_add3_u32 v248, v31, v248, v251                           // 00000000D4C0: D1FF00F8 07EFF11F
	v_cndmask_b32_e64 v29, v248, v250, s[74:75]                // 00000000D4C8: D100001D 012BF5F8
	v_and_or_b32 v185, v29, v249, v28                          // 00000000D4D0: D20100B9 0473F31D
	v_mov_b32_e32 v30, v220                                    // 00000000D4D8: 7E3C03DC
	v_mov_b32_e32 v31, v221                                    // 00000000D4DC: 7E3E03DD
	v_cmp_u_f32_e64 s[74:75], v30, v30                         // 00000000D4E0: D048004A 00023D1E
	v_bfe_u32 v248, v30, 16, 1                                 // 00000000D4E8: D1C800F8 0205211E
	v_add3_u32 v248, v30, v248, v251                           // 00000000D4F0: D1FF00F8 07EFF11E
	v_cndmask_b32_e64 v28, v248, v250, s[74:75]                // 00000000D4F8: D100001C 012BF5F8
	v_lshrrev_b32_e32 v28, 16, v28                             // 00000000D500: 20383890
	v_cmp_u_f32_e64 s[74:75], v31, v31                         // 00000000D504: D048004A 00023F1F
	v_bfe_u32 v248, v31, 16, 1                                 // 00000000D50C: D1C800F8 0205211F
	v_add3_u32 v248, v31, v248, v251                           // 00000000D514: D1FF00F8 07EFF11F
	v_cndmask_b32_e64 v29, v248, v250, s[74:75]                // 00000000D51C: D100001D 012BF5F8
	v_and_or_b32 v186, v29, v249, v28                          // 00000000D524: D20100BA 0473F31D
	v_mov_b32_e32 v30, v222                                    // 00000000D52C: 7E3C03DE
	v_mov_b32_e32 v31, v223                                    // 00000000D530: 7E3E03DF
	v_cmp_u_f32_e64 s[74:75], v30, v30                         // 00000000D534: D048004A 00023D1E
	v_bfe_u32 v248, v30, 16, 1                                 // 00000000D53C: D1C800F8 0205211E
	v_add3_u32 v248, v30, v248, v251                           // 00000000D544: D1FF00F8 07EFF11E
	v_cndmask_b32_e64 v28, v248, v250, s[74:75]                // 00000000D54C: D100001C 012BF5F8
	v_lshrrev_b32_e32 v28, 16, v28                             // 00000000D554: 20383890
	v_cmp_u_f32_e64 s[74:75], v31, v31                         // 00000000D558: D048004A 00023F1F
	v_bfe_u32 v248, v31, 16, 1                                 // 00000000D560: D1C800F8 0205211F
	v_add3_u32 v248, v31, v248, v251                           // 00000000D568: D1FF00F8 07EFF11F
	v_cndmask_b32_e64 v29, v248, v250, s[74:75]                // 00000000D570: D100001D 012BF5F8
	v_and_or_b32 v187, v29, v249, v28                          // 00000000D578: D20100BB 0473F31D
	v_mov_b32_e32 v30, v224                                    // 00000000D580: 7E3C03E0
	v_mov_b32_e32 v31, v225                                    // 00000000D584: 7E3E03E1
	v_cmp_u_f32_e64 s[74:75], v30, v30                         // 00000000D588: D048004A 00023D1E
	v_bfe_u32 v248, v30, 16, 1                                 // 00000000D590: D1C800F8 0205211E
	v_add3_u32 v248, v30, v248, v251                           // 00000000D598: D1FF00F8 07EFF11E
	v_cndmask_b32_e64 v28, v248, v250, s[74:75]                // 00000000D5A0: D100001C 012BF5F8
	v_lshrrev_b32_e32 v28, 16, v28                             // 00000000D5A8: 20383890
	v_cmp_u_f32_e64 s[74:75], v31, v31                         // 00000000D5AC: D048004A 00023F1F
	v_bfe_u32 v248, v31, 16, 1                                 // 00000000D5B4: D1C800F8 0205211F
	v_add3_u32 v248, v31, v248, v251                           // 00000000D5BC: D1FF00F8 07EFF11F
	v_cndmask_b32_e64 v29, v248, v250, s[74:75]                // 00000000D5C4: D100001D 012BF5F8
	v_and_or_b32 v188, v29, v249, v28                          // 00000000D5CC: D20100BC 0473F31D
	v_mov_b32_e32 v30, v226                                    // 00000000D5D4: 7E3C03E2
	v_mov_b32_e32 v31, v227                                    // 00000000D5D8: 7E3E03E3
	v_cmp_u_f32_e64 s[74:75], v30, v30                         // 00000000D5DC: D048004A 00023D1E
	v_bfe_u32 v248, v30, 16, 1                                 // 00000000D5E4: D1C800F8 0205211E
	v_add3_u32 v248, v30, v248, v251                           // 00000000D5EC: D1FF00F8 07EFF11E
	v_cndmask_b32_e64 v28, v248, v250, s[74:75]                // 00000000D5F4: D100001C 012BF5F8
	v_lshrrev_b32_e32 v28, 16, v28                             // 00000000D5FC: 20383890
	v_cmp_u_f32_e64 s[74:75], v31, v31                         // 00000000D600: D048004A 00023F1F
	v_bfe_u32 v248, v31, 16, 1                                 // 00000000D608: D1C800F8 0205211F
	v_add3_u32 v248, v31, v248, v251                           // 00000000D610: D1FF00F8 07EFF11F
	v_cndmask_b32_e64 v29, v248, v250, s[74:75]                // 00000000D618: D100001D 012BF5F8
	v_and_or_b32 v189, v29, v249, v28                          // 00000000D620: D20100BD 0473F31D
	v_mov_b32_e32 v30, v228                                    // 00000000D628: 7E3C03E4
	v_mov_b32_e32 v31, v229                                    // 00000000D62C: 7E3E03E5
	v_cmp_u_f32_e64 s[74:75], v30, v30                         // 00000000D630: D048004A 00023D1E
	v_bfe_u32 v248, v30, 16, 1                                 // 00000000D638: D1C800F8 0205211E
	v_add3_u32 v248, v30, v248, v251                           // 00000000D640: D1FF00F8 07EFF11E
	v_cndmask_b32_e64 v28, v248, v250, s[74:75]                // 00000000D648: D100001C 012BF5F8
	v_lshrrev_b32_e32 v28, 16, v28                             // 00000000D650: 20383890
	v_cmp_u_f32_e64 s[74:75], v31, v31                         // 00000000D654: D048004A 00023F1F
	v_bfe_u32 v248, v31, 16, 1                                 // 00000000D65C: D1C800F8 0205211F
	v_add3_u32 v248, v31, v248, v251                           // 00000000D664: D1FF00F8 07EFF11F
	v_cndmask_b32_e64 v29, v248, v250, s[74:75]                // 00000000D66C: D100001D 012BF5F8
	v_and_or_b32 v190, v29, v249, v28                          // 00000000D674: D20100BE 0473F31D
	v_mov_b32_e32 v30, v230                                    // 00000000D67C: 7E3C03E6
	v_mov_b32_e32 v31, v231                                    // 00000000D680: 7E3E03E7
	v_cmp_u_f32_e64 s[74:75], v30, v30                         // 00000000D684: D048004A 00023D1E
	v_bfe_u32 v248, v30, 16, 1                                 // 00000000D68C: D1C800F8 0205211E
	v_add3_u32 v248, v30, v248, v251                           // 00000000D694: D1FF00F8 07EFF11E
	v_cndmask_b32_e64 v28, v248, v250, s[74:75]                // 00000000D69C: D100001C 012BF5F8
	v_lshrrev_b32_e32 v28, 16, v28                             // 00000000D6A4: 20383890
	v_cmp_u_f32_e64 s[74:75], v31, v31                         // 00000000D6A8: D048004A 00023F1F
	v_bfe_u32 v248, v31, 16, 1                                 // 00000000D6B0: D1C800F8 0205211F
	v_add3_u32 v248, v31, v248, v251                           // 00000000D6B8: D1FF00F8 07EFF11F
	v_cndmask_b32_e64 v29, v248, v250, s[74:75]                // 00000000D6C0: D100001D 012BF5F8
	v_and_or_b32 v191, v29, v249, v28                          // 00000000D6C8: D20100BF 0473F31D
	v_mov_b32_e32 v30, v232                                    // 00000000D6D0: 7E3C03E8
	v_mov_b32_e32 v31, v233                                    // 00000000D6D4: 7E3E03E9
	v_cmp_u_f32_e64 s[74:75], v30, v30                         // 00000000D6D8: D048004A 00023D1E
	v_bfe_u32 v248, v30, 16, 1                                 // 00000000D6E0: D1C800F8 0205211E
	v_add3_u32 v248, v30, v248, v251                           // 00000000D6E8: D1FF00F8 07EFF11E
	v_cndmask_b32_e64 v28, v248, v250, s[74:75]                // 00000000D6F0: D100001C 012BF5F8
	v_lshrrev_b32_e32 v28, 16, v28                             // 00000000D6F8: 20383890
	v_cmp_u_f32_e64 s[74:75], v31, v31                         // 00000000D6FC: D048004A 00023F1F
	v_bfe_u32 v248, v31, 16, 1                                 // 00000000D704: D1C800F8 0205211F
	v_add3_u32 v248, v31, v248, v251                           // 00000000D70C: D1FF00F8 07EFF11F
	v_cndmask_b32_e64 v29, v248, v250, s[74:75]                // 00000000D714: D100001D 012BF5F8
	v_and_or_b32 v192, v29, v249, v28                          // 00000000D71C: D20100C0 0473F31D
	v_mov_b32_e32 v30, v234                                    // 00000000D724: 7E3C03EA
	v_mov_b32_e32 v31, v235                                    // 00000000D728: 7E3E03EB
	v_cmp_u_f32_e64 s[74:75], v30, v30                         // 00000000D72C: D048004A 00023D1E
	v_bfe_u32 v248, v30, 16, 1                                 // 00000000D734: D1C800F8 0205211E
	v_add3_u32 v248, v30, v248, v251                           // 00000000D73C: D1FF00F8 07EFF11E
	v_cndmask_b32_e64 v28, v248, v250, s[74:75]                // 00000000D744: D100001C 012BF5F8
	v_lshrrev_b32_e32 v28, 16, v28                             // 00000000D74C: 20383890
	v_cmp_u_f32_e64 s[74:75], v31, v31                         // 00000000D750: D048004A 00023F1F
	v_bfe_u32 v248, v31, 16, 1                                 // 00000000D758: D1C800F8 0205211F
	v_add3_u32 v248, v31, v248, v251                           // 00000000D760: D1FF00F8 07EFF11F
	v_cndmask_b32_e64 v29, v248, v250, s[74:75]                // 00000000D768: D100001D 012BF5F8
	v_and_or_b32 v193, v29, v249, v28                          // 00000000D770: D20100C1 0473F31D
	v_mov_b32_e32 v30, v236                                    // 00000000D778: 7E3C03EC
	v_mov_b32_e32 v31, v237                                    // 00000000D77C: 7E3E03ED
	v_cmp_u_f32_e64 s[74:75], v30, v30                         // 00000000D780: D048004A 00023D1E
	v_bfe_u32 v248, v30, 16, 1                                 // 00000000D788: D1C800F8 0205211E
	v_add3_u32 v248, v30, v248, v251                           // 00000000D790: D1FF00F8 07EFF11E
	v_cndmask_b32_e64 v28, v248, v250, s[74:75]                // 00000000D798: D100001C 012BF5F8
	v_lshrrev_b32_e32 v28, 16, v28                             // 00000000D7A0: 20383890
	v_cmp_u_f32_e64 s[74:75], v31, v31                         // 00000000D7A4: D048004A 00023F1F
	v_bfe_u32 v248, v31, 16, 1                                 // 00000000D7AC: D1C800F8 0205211F
	v_add3_u32 v248, v31, v248, v251                           // 00000000D7B4: D1FF00F8 07EFF11F
	v_cndmask_b32_e64 v29, v248, v250, s[74:75]                // 00000000D7BC: D100001D 012BF5F8
	v_and_or_b32 v194, v29, v249, v28                          // 00000000D7C4: D20100C2 0473F31D
	v_mov_b32_e32 v30, v238                                    // 00000000D7CC: 7E3C03EE
	v_mov_b32_e32 v31, v239                                    // 00000000D7D0: 7E3E03EF
	v_cmp_u_f32_e64 s[74:75], v30, v30                         // 00000000D7D4: D048004A 00023D1E
	v_bfe_u32 v248, v30, 16, 1                                 // 00000000D7DC: D1C800F8 0205211E
	v_add3_u32 v248, v30, v248, v251                           // 00000000D7E4: D1FF00F8 07EFF11E
	v_cndmask_b32_e64 v28, v248, v250, s[74:75]                // 00000000D7EC: D100001C 012BF5F8
	v_lshrrev_b32_e32 v28, 16, v28                             // 00000000D7F4: 20383890
	v_cmp_u_f32_e64 s[74:75], v31, v31                         // 00000000D7F8: D048004A 00023F1F
	v_bfe_u32 v248, v31, 16, 1                                 // 00000000D800: D1C800F8 0205211F
	v_add3_u32 v248, v31, v248, v251                           // 00000000D808: D1FF00F8 07EFF11F
	v_cndmask_b32_e64 v29, v248, v250, s[74:75]                // 00000000D810: D100001D 012BF5F8
	v_and_or_b32 v195, v29, v249, v28                          // 00000000D818: D20100C3 0473F31D
	v_mov_b32_e32 v30, v240                                    // 00000000D820: 7E3C03F0
	v_mov_b32_e32 v31, v241                                    // 00000000D824: 7E3E03F1
	v_cmp_u_f32_e64 s[74:75], v30, v30                         // 00000000D828: D048004A 00023D1E
	v_bfe_u32 v248, v30, 16, 1                                 // 00000000D830: D1C800F8 0205211E
	v_add3_u32 v248, v30, v248, v251                           // 00000000D838: D1FF00F8 07EFF11E
	v_cndmask_b32_e64 v28, v248, v250, s[74:75]                // 00000000D840: D100001C 012BF5F8
	v_lshrrev_b32_e32 v28, 16, v28                             // 00000000D848: 20383890
	v_cmp_u_f32_e64 s[74:75], v31, v31                         // 00000000D84C: D048004A 00023F1F
	v_bfe_u32 v248, v31, 16, 1                                 // 00000000D854: D1C800F8 0205211F
	v_add3_u32 v248, v31, v248, v251                           // 00000000D85C: D1FF00F8 07EFF11F
	v_cndmask_b32_e64 v29, v248, v250, s[74:75]                // 00000000D864: D100001D 012BF5F8
	v_and_or_b32 v196, v29, v249, v28                          // 00000000D86C: D20100C4 0473F31D
	v_mov_b32_e32 v30, v242                                    // 00000000D874: 7E3C03F2
	v_mov_b32_e32 v31, v243                                    // 00000000D878: 7E3E03F3
	v_cmp_u_f32_e64 s[74:75], v30, v30                         // 00000000D87C: D048004A 00023D1E
	v_bfe_u32 v248, v30, 16, 1                                 // 00000000D884: D1C800F8 0205211E
	v_add3_u32 v248, v30, v248, v251                           // 00000000D88C: D1FF00F8 07EFF11E
	v_cndmask_b32_e64 v28, v248, v250, s[74:75]                // 00000000D894: D100001C 012BF5F8
	v_lshrrev_b32_e32 v28, 16, v28                             // 00000000D89C: 20383890
	v_cmp_u_f32_e64 s[74:75], v31, v31                         // 00000000D8A0: D048004A 00023F1F
	v_bfe_u32 v248, v31, 16, 1                                 // 00000000D8A8: D1C800F8 0205211F
	v_add3_u32 v248, v31, v248, v251                           // 00000000D8B0: D1FF00F8 07EFF11F
	v_cndmask_b32_e64 v29, v248, v250, s[74:75]                // 00000000D8B8: D100001D 012BF5F8
	v_and_or_b32 v197, v29, v249, v28                          // 00000000D8C0: D20100C5 0473F31D
	v_mov_b32_e32 v30, v244                                    // 00000000D8C8: 7E3C03F4
	v_mov_b32_e32 v31, v245                                    // 00000000D8CC: 7E3E03F5
	v_cmp_u_f32_e64 s[74:75], v30, v30                         // 00000000D8D0: D048004A 00023D1E
	v_bfe_u32 v248, v30, 16, 1                                 // 00000000D8D8: D1C800F8 0205211E
	v_add3_u32 v248, v30, v248, v251                           // 00000000D8E0: D1FF00F8 07EFF11E
	v_cndmask_b32_e64 v28, v248, v250, s[74:75]                // 00000000D8E8: D100001C 012BF5F8
	v_lshrrev_b32_e32 v28, 16, v28                             // 00000000D8F0: 20383890
	v_cmp_u_f32_e64 s[74:75], v31, v31                         // 00000000D8F4: D048004A 00023F1F
	v_bfe_u32 v248, v31, 16, 1                                 // 00000000D8FC: D1C800F8 0205211F
	v_add3_u32 v248, v31, v248, v251                           // 00000000D904: D1FF00F8 07EFF11F
	v_cndmask_b32_e64 v29, v248, v250, s[74:75]                // 00000000D90C: D100001D 012BF5F8
	v_and_or_b32 v198, v29, v249, v28                          // 00000000D914: D20100C6 0473F31D
	v_mov_b32_e32 v30, v246                                    // 00000000D91C: 7E3C03F6
	v_mov_b32_e32 v31, v247                                    // 00000000D920: 7E3E03F7
	v_cmp_u_f32_e64 s[74:75], v30, v30                         // 00000000D924: D048004A 00023D1E
	v_bfe_u32 v248, v30, 16, 1                                 // 00000000D92C: D1C800F8 0205211E
	v_add3_u32 v248, v30, v248, v251                           // 00000000D934: D1FF00F8 07EFF11E
	v_cndmask_b32_e64 v28, v248, v250, s[74:75]                // 00000000D93C: D100001C 012BF5F8
	v_lshrrev_b32_e32 v28, 16, v28                             // 00000000D944: 20383890
	v_cmp_u_f32_e64 s[74:75], v31, v31                         // 00000000D948: D048004A 00023F1F
	v_bfe_u32 v248, v31, 16, 1                                 // 00000000D950: D1C800F8 0205211F
	v_add3_u32 v248, v31, v248, v251                           // 00000000D958: D1FF00F8 07EFF11F
	v_cndmask_b32_e64 v29, v248, v250, s[74:75]                // 00000000D960: D100001D 012BF5F8
	v_and_or_b32 v199, v29, v249, v28                          // 00000000D968: D20100C7 0473F31D
	ds_write_b64 v25, v[184:185] offset:33792                  // 00000000D970: D89A8400 0000B819
	ds_write_b64 v25, v[186:187] offset:34320                  // 00000000D978: D89A8610 0000BA19
	ds_write_b64 v25, v[188:189] offset:34848                  // 00000000D980: D89A8820 0000BC19
	ds_write_b64 v25, v[190:191] offset:35376                  // 00000000D988: D89A8A30 0000BE19
	ds_write_b64 v25, v[192:193] offset:35904                  // 00000000D990: D89A8C40 0000C019
	ds_write_b64 v25, v[194:195] offset:36432                  // 00000000D998: D89A8E50 0000C219
	ds_write_b64 v25, v[196:197] offset:36960                  // 00000000D9A0: D89A9060 0000C419
	ds_write_b64 v25, v[198:199] offset:37488                  // 00000000D9A8: D89A9270 0000C619
	s_waitcnt lgkmcnt(0)                                       // 00000000D9B0: BF8CC07F
	s_barrier                                                  // 00000000D9B4: BF8A0000
	ds_read_b64 v[184:185], v24 offset:33792                   // 00000000D9B8: D8EC8400 B8000018
	ds_read_b64 v[186:187], v24 offset:33920                   // 00000000D9C0: D8EC8480 BA000018
	ds_read_b64 v[188:189], v24 offset:33824                   // 00000000D9C8: D8EC8420 BC000018
	ds_read_b64 v[190:191], v24 offset:33952                   // 00000000D9D0: D8EC84A0 BE000018
	ds_read_b64 v[192:193], v24 offset:33856                   // 00000000D9D8: D8EC8440 C0000018
	ds_read_b64 v[194:195], v24 offset:33984                   // 00000000D9E0: D8EC84C0 C2000018
	ds_read_b64 v[196:197], v24 offset:33888                   // 00000000D9E8: D8EC8460 C4000018
	ds_read_b64 v[198:199], v24 offset:34016                   // 00000000D9F0: D8EC84E0 C6000018
	s_waitcnt lgkmcnt(0)                                       // 00000000D9F8: BF8CC07F
	s_mov_b32 s70, s53                                         // 00000000D9FC: BEC60035
	s_mov_b64 exec, s[90:91]                                   // 00000000DA00: BEFE015A
	buffer_store_dwordx4 v[184:187], v6, s[40:43], 0 idxen     // 00000000DA04: E07C2000 800AB806
	s_mov_b64 exec, s[86:87]                                   // 00000000DA0C: BEFE0156
	v_add_u32_e32 v6, s70, v6                                  // 00000000DA10: 680C0C46
	s_mov_b64 exec, s[90:91]                                   // 00000000DA14: BEFE015A
	buffer_store_dwordx4 v[188:191], v6, s[40:43], 0 idxen     // 00000000DA18: E07C2000 800ABC06
	s_mov_b64 exec, s[86:87]                                   // 00000000DA20: BEFE0156
	v_add_u32_e32 v6, s70, v6                                  // 00000000DA24: 680C0C46
	s_mov_b64 exec, s[90:91]                                   // 00000000DA28: BEFE015A
	buffer_store_dwordx4 v[192:195], v6, s[40:43], 0 idxen     // 00000000DA2C: E07C2000 800AC006
	s_mov_b64 exec, s[86:87]                                   // 00000000DA34: BEFE0156
	v_add_u32_e32 v6, s70, v6                                  // 00000000DA38: 680C0C46
	s_mov_b64 exec, s[90:91]                                   // 00000000DA3C: BEFE015A
	buffer_store_dwordx4 v[196:199], v6, s[40:43], 0 idxen     // 00000000DA40: E07C2000 800AC406
	s_mov_b64 exec, s[86:87]                                   // 00000000DA48: BEFE0156
	v_add_u32_e32 v6, s70, v6                                  // 00000000DA4C: 680C0C46
	s_mul_i32 s60, 12, s70                                     // 00000000DA50: 923C468C
	v_add_u32_e32 v6, s60, v6                                  // 00000000DA54: 680C0C3C
	s_cmp_ge_i32 3, s73                                        // 00000000DA58: BF034983
	s_cbranch_scc1 label_2730                                  // 00000000DA5C: BF850000

000000000000da60 <label_2730>:
	s_waitcnt vmcnt(0) expcnt(0) lgkmcnt(0)                    // 00000000DA60: BF8C0000
	s_endpgm                                                   // 00000000DA64: BF810000
